;; amdgpu-corpus repo=ROCm/rocFFT kind=compiled arch=gfx1030 opt=O3
	.text
	.amdgcn_target "amdgcn-amd-amdhsa--gfx1030"
	.amdhsa_code_object_version 6
	.protected	fft_rtc_back_len1440_factors_10_16_3_3_wgs_90_tpt_90_halfLds_half_ip_CI_unitstride_sbrr_R2C_dirReg ; -- Begin function fft_rtc_back_len1440_factors_10_16_3_3_wgs_90_tpt_90_halfLds_half_ip_CI_unitstride_sbrr_R2C_dirReg
	.globl	fft_rtc_back_len1440_factors_10_16_3_3_wgs_90_tpt_90_halfLds_half_ip_CI_unitstride_sbrr_R2C_dirReg
	.p2align	8
	.type	fft_rtc_back_len1440_factors_10_16_3_3_wgs_90_tpt_90_halfLds_half_ip_CI_unitstride_sbrr_R2C_dirReg,@function
fft_rtc_back_len1440_factors_10_16_3_3_wgs_90_tpt_90_halfLds_half_ip_CI_unitstride_sbrr_R2C_dirReg: ; @fft_rtc_back_len1440_factors_10_16_3_3_wgs_90_tpt_90_halfLds_half_ip_CI_unitstride_sbrr_R2C_dirReg
; %bb.0:
	s_clause 0x2
	s_load_dwordx4 s[8:11], s[4:5], 0x0
	s_load_dwordx2 s[2:3], s[4:5], 0x50
	s_load_dwordx2 s[12:13], s[4:5], 0x18
	v_mul_u32_u24_e32 v1, 0x2d9, v0
	v_mov_b32_e32 v3, 0
	v_add_nc_u32_sdwa v5, s6, v1 dst_sel:DWORD dst_unused:UNUSED_PAD src0_sel:DWORD src1_sel:WORD_1
	v_mov_b32_e32 v1, 0
	v_mov_b32_e32 v6, v3
	v_mov_b32_e32 v2, 0
	s_waitcnt lgkmcnt(0)
	v_cmp_lt_u64_e64 s0, s[10:11], 2
	s_and_b32 vcc_lo, exec_lo, s0
	s_cbranch_vccnz .LBB0_8
; %bb.1:
	s_load_dwordx2 s[0:1], s[4:5], 0x10
	v_mov_b32_e32 v1, 0
	s_add_u32 s6, s12, 8
	v_mov_b32_e32 v2, 0
	s_addc_u32 s7, s13, 0
	s_mov_b64 s[16:17], 1
	s_waitcnt lgkmcnt(0)
	s_add_u32 s14, s0, 8
	s_addc_u32 s15, s1, 0
.LBB0_2:                                ; =>This Inner Loop Header: Depth=1
	s_load_dwordx2 s[18:19], s[14:15], 0x0
                                        ; implicit-def: $vgpr7_vgpr8
	s_mov_b32 s0, exec_lo
	s_waitcnt lgkmcnt(0)
	v_or_b32_e32 v4, s19, v6
	v_cmpx_ne_u64_e32 0, v[3:4]
	s_xor_b32 s1, exec_lo, s0
	s_cbranch_execz .LBB0_4
; %bb.3:                                ;   in Loop: Header=BB0_2 Depth=1
	v_cvt_f32_u32_e32 v4, s18
	v_cvt_f32_u32_e32 v7, s19
	s_sub_u32 s0, 0, s18
	s_subb_u32 s20, 0, s19
	v_fmac_f32_e32 v4, 0x4f800000, v7
	v_rcp_f32_e32 v4, v4
	v_mul_f32_e32 v4, 0x5f7ffffc, v4
	v_mul_f32_e32 v7, 0x2f800000, v4
	v_trunc_f32_e32 v7, v7
	v_fmac_f32_e32 v4, 0xcf800000, v7
	v_cvt_u32_f32_e32 v7, v7
	v_cvt_u32_f32_e32 v4, v4
	v_mul_lo_u32 v8, s0, v7
	v_mul_hi_u32 v9, s0, v4
	v_mul_lo_u32 v10, s20, v4
	v_add_nc_u32_e32 v8, v9, v8
	v_mul_lo_u32 v9, s0, v4
	v_add_nc_u32_e32 v8, v8, v10
	v_mul_hi_u32 v10, v4, v9
	v_mul_lo_u32 v11, v4, v8
	v_mul_hi_u32 v12, v4, v8
	v_mul_hi_u32 v13, v7, v9
	v_mul_lo_u32 v9, v7, v9
	v_mul_hi_u32 v14, v7, v8
	v_mul_lo_u32 v8, v7, v8
	v_add_co_u32 v10, vcc_lo, v10, v11
	v_add_co_ci_u32_e32 v11, vcc_lo, 0, v12, vcc_lo
	v_add_co_u32 v9, vcc_lo, v10, v9
	v_add_co_ci_u32_e32 v9, vcc_lo, v11, v13, vcc_lo
	v_add_co_ci_u32_e32 v10, vcc_lo, 0, v14, vcc_lo
	v_add_co_u32 v8, vcc_lo, v9, v8
	v_add_co_ci_u32_e32 v9, vcc_lo, 0, v10, vcc_lo
	v_add_co_u32 v4, vcc_lo, v4, v8
	v_add_co_ci_u32_e32 v7, vcc_lo, v7, v9, vcc_lo
	v_mul_hi_u32 v8, s0, v4
	v_mul_lo_u32 v10, s20, v4
	v_mul_lo_u32 v9, s0, v7
	v_add_nc_u32_e32 v8, v8, v9
	v_mul_lo_u32 v9, s0, v4
	v_add_nc_u32_e32 v8, v8, v10
	v_mul_hi_u32 v10, v4, v9
	v_mul_lo_u32 v11, v4, v8
	v_mul_hi_u32 v12, v4, v8
	v_mul_hi_u32 v13, v7, v9
	v_mul_lo_u32 v9, v7, v9
	v_mul_hi_u32 v14, v7, v8
	v_mul_lo_u32 v8, v7, v8
	v_add_co_u32 v10, vcc_lo, v10, v11
	v_add_co_ci_u32_e32 v11, vcc_lo, 0, v12, vcc_lo
	v_add_co_u32 v9, vcc_lo, v10, v9
	v_add_co_ci_u32_e32 v9, vcc_lo, v11, v13, vcc_lo
	v_add_co_ci_u32_e32 v10, vcc_lo, 0, v14, vcc_lo
	v_add_co_u32 v8, vcc_lo, v9, v8
	v_add_co_ci_u32_e32 v9, vcc_lo, 0, v10, vcc_lo
	v_add_co_u32 v4, vcc_lo, v4, v8
	v_add_co_ci_u32_e32 v11, vcc_lo, v7, v9, vcc_lo
	v_mul_hi_u32 v13, v5, v4
	v_mad_u64_u32 v[9:10], null, v6, v4, 0
	v_mad_u64_u32 v[7:8], null, v5, v11, 0
	;; [unrolled: 1-line block ×3, first 2 shown]
	v_add_co_u32 v4, vcc_lo, v13, v7
	v_add_co_ci_u32_e32 v7, vcc_lo, 0, v8, vcc_lo
	v_add_co_u32 v4, vcc_lo, v4, v9
	v_add_co_ci_u32_e32 v4, vcc_lo, v7, v10, vcc_lo
	v_add_co_ci_u32_e32 v7, vcc_lo, 0, v12, vcc_lo
	v_add_co_u32 v4, vcc_lo, v4, v11
	v_add_co_ci_u32_e32 v9, vcc_lo, 0, v7, vcc_lo
	v_mul_lo_u32 v10, s19, v4
	v_mad_u64_u32 v[7:8], null, s18, v4, 0
	v_mul_lo_u32 v11, s18, v9
	v_sub_co_u32 v7, vcc_lo, v5, v7
	v_add3_u32 v8, v8, v11, v10
	v_sub_nc_u32_e32 v10, v6, v8
	v_subrev_co_ci_u32_e64 v10, s0, s19, v10, vcc_lo
	v_add_co_u32 v11, s0, v4, 2
	v_add_co_ci_u32_e64 v12, s0, 0, v9, s0
	v_sub_co_u32 v13, s0, v7, s18
	v_sub_co_ci_u32_e32 v8, vcc_lo, v6, v8, vcc_lo
	v_subrev_co_ci_u32_e64 v10, s0, 0, v10, s0
	v_cmp_le_u32_e32 vcc_lo, s18, v13
	v_cmp_eq_u32_e64 s0, s19, v8
	v_cndmask_b32_e64 v13, 0, -1, vcc_lo
	v_cmp_le_u32_e32 vcc_lo, s19, v10
	v_cndmask_b32_e64 v14, 0, -1, vcc_lo
	v_cmp_le_u32_e32 vcc_lo, s18, v7
	;; [unrolled: 2-line block ×3, first 2 shown]
	v_cndmask_b32_e64 v15, 0, -1, vcc_lo
	v_cmp_eq_u32_e32 vcc_lo, s19, v10
	v_cndmask_b32_e64 v7, v15, v7, s0
	v_cndmask_b32_e32 v10, v14, v13, vcc_lo
	v_add_co_u32 v13, vcc_lo, v4, 1
	v_add_co_ci_u32_e32 v14, vcc_lo, 0, v9, vcc_lo
	v_cmp_ne_u32_e32 vcc_lo, 0, v10
	v_cndmask_b32_e32 v8, v14, v12, vcc_lo
	v_cndmask_b32_e32 v10, v13, v11, vcc_lo
	v_cmp_ne_u32_e32 vcc_lo, 0, v7
	v_cndmask_b32_e32 v8, v9, v8, vcc_lo
	v_cndmask_b32_e32 v7, v4, v10, vcc_lo
.LBB0_4:                                ;   in Loop: Header=BB0_2 Depth=1
	s_andn2_saveexec_b32 s0, s1
	s_cbranch_execz .LBB0_6
; %bb.5:                                ;   in Loop: Header=BB0_2 Depth=1
	v_cvt_f32_u32_e32 v4, s18
	s_sub_i32 s1, 0, s18
	v_rcp_iflag_f32_e32 v4, v4
	v_mul_f32_e32 v4, 0x4f7ffffe, v4
	v_cvt_u32_f32_e32 v4, v4
	v_mul_lo_u32 v7, s1, v4
	v_mul_hi_u32 v7, v4, v7
	v_add_nc_u32_e32 v4, v4, v7
	v_mul_hi_u32 v4, v5, v4
	v_mul_lo_u32 v7, v4, s18
	v_add_nc_u32_e32 v8, 1, v4
	v_sub_nc_u32_e32 v7, v5, v7
	v_subrev_nc_u32_e32 v9, s18, v7
	v_cmp_le_u32_e32 vcc_lo, s18, v7
	v_cndmask_b32_e32 v7, v7, v9, vcc_lo
	v_cndmask_b32_e32 v4, v4, v8, vcc_lo
	v_cmp_le_u32_e32 vcc_lo, s18, v7
	v_add_nc_u32_e32 v8, 1, v4
	v_cndmask_b32_e32 v7, v4, v8, vcc_lo
	v_mov_b32_e32 v8, v3
.LBB0_6:                                ;   in Loop: Header=BB0_2 Depth=1
	s_or_b32 exec_lo, exec_lo, s0
	s_load_dwordx2 s[0:1], s[6:7], 0x0
	v_mul_lo_u32 v4, v8, s18
	v_mul_lo_u32 v11, v7, s19
	v_mad_u64_u32 v[9:10], null, v7, s18, 0
	s_add_u32 s16, s16, 1
	s_addc_u32 s17, s17, 0
	s_add_u32 s6, s6, 8
	s_addc_u32 s7, s7, 0
	;; [unrolled: 2-line block ×3, first 2 shown]
	v_add3_u32 v4, v10, v11, v4
	v_sub_co_u32 v5, vcc_lo, v5, v9
	v_sub_co_ci_u32_e32 v4, vcc_lo, v6, v4, vcc_lo
	s_waitcnt lgkmcnt(0)
	v_mul_lo_u32 v6, s1, v5
	v_mul_lo_u32 v4, s0, v4
	v_mad_u64_u32 v[1:2], null, s0, v5, v[1:2]
	v_cmp_ge_u64_e64 s0, s[16:17], s[10:11]
	s_and_b32 vcc_lo, exec_lo, s0
	v_add3_u32 v2, v6, v2, v4
	s_cbranch_vccnz .LBB0_9
; %bb.7:                                ;   in Loop: Header=BB0_2 Depth=1
	v_mov_b32_e32 v5, v7
	v_mov_b32_e32 v6, v8
	s_branch .LBB0_2
.LBB0_8:
	v_mov_b32_e32 v8, v6
	v_mov_b32_e32 v7, v5
.LBB0_9:
	s_lshl_b64 s[0:1], s[10:11], 3
	v_mul_hi_u32 v3, 0x2d82d83, v0
	s_add_u32 s0, s12, s0
	s_addc_u32 s1, s13, s1
	s_load_dwordx2 s[0:1], s[0:1], 0x0
	s_load_dwordx2 s[4:5], s[4:5], 0x20
	v_mul_u32_u24_e32 v3, 0x5a, v3
	v_sub_nc_u32_e32 v0, v0, v3
	s_waitcnt lgkmcnt(0)
	v_mul_lo_u32 v4, s0, v8
	v_mul_lo_u32 v5, s1, v7
	v_mad_u64_u32 v[1:2], null, s0, v7, v[1:2]
	v_cmp_gt_u64_e32 vcc_lo, s[4:5], v[7:8]
	v_cmp_le_u64_e64 s0, s[4:5], v[7:8]
	v_add3_u32 v2, v5, v2, v4
	v_add_nc_u32_e32 v4, 0x5a, v0
	s_and_saveexec_b32 s1, s0
	s_xor_b32 s0, exec_lo, s1
; %bb.10:
	v_add_nc_u32_e32 v4, 0x5a, v0
; %bb.11:
	s_or_saveexec_b32 s1, s0
	v_lshlrev_b64 v[2:3], 2, v[1:2]
	v_lshl_add_u32 v25, v0, 2, 0
	s_xor_b32 exec_lo, exec_lo, s1
	s_cbranch_execz .LBB0_13
; %bb.12:
	v_mov_b32_e32 v1, 0
	v_add_nc_u32_e32 v21, 0x400, v25
	v_add_nc_u32_e32 v22, 0x800, v25
	;; [unrolled: 1-line block ×4, first 2 shown]
	v_lshlrev_b64 v[5:6], 2, v[0:1]
	v_add_co_u32 v1, s0, s2, v2
	v_add_co_ci_u32_e64 v7, s0, s3, v3, s0
	v_add_nc_u32_e32 v26, 0x1000, v25
	v_add_co_u32 v5, s0, v1, v5
	v_add_co_ci_u32_e64 v6, s0, v7, v6, s0
	v_add_nc_u32_e32 v27, 0x1200, v25
	v_add_co_u32 v7, s0, 0x800, v5
	v_add_co_ci_u32_e64 v8, s0, 0, v6, s0
	s_clause 0x7
	global_load_dword v1, v[5:6], off
	global_load_dword v9, v[5:6], off offset:360
	global_load_dword v10, v[5:6], off offset:720
	;; [unrolled: 1-line block ×7, first 2 shown]
	v_add_co_u32 v5, s0, 0x1000, v5
	v_add_co_ci_u32_e64 v6, s0, 0, v6, s0
	s_clause 0x7
	global_load_dword v16, v[7:8], off offset:832
	global_load_dword v17, v[7:8], off offset:1192
	;; [unrolled: 1-line block ×8, first 2 shown]
	v_add_nc_u32_e32 v6, 0x200, v25
	s_waitcnt vmcnt(14)
	ds_write2_b32 v25, v1, v9 offset1:90
	s_waitcnt vmcnt(12)
	ds_write2_b32 v6, v10, v11 offset0:52 offset1:142
	s_waitcnt vmcnt(10)
	ds_write2_b32 v21, v12, v13 offset0:104 offset1:194
	;; [unrolled: 2-line block ×7, first 2 shown]
.LBB0_13:
	s_or_b32 exec_lo, exec_lo, s1
	v_add_nc_u32_e32 v1, 0x400, v25
	v_add_nc_u32_e32 v27, 0x800, v25
	;; [unrolled: 1-line block ×4, first 2 shown]
	s_waitcnt lgkmcnt(0)
	s_barrier
	buffer_gl0_inv
	ds_read2_b32 v[17:18], v25 offset1:90
	ds_read2_b32 v[19:20], v1 offset0:32 offset1:122
	ds_read2_b32 v[9:10], v27 offset0:64 offset1:154
	;; [unrolled: 1-line block ×4, first 2 shown]
	v_add_nc_u32_e32 v30, 0x600, v25
	v_add_nc_u32_e32 v31, 0xa00, v25
	;; [unrolled: 1-line block ×4, first 2 shown]
	ds_read2_b32 v[21:22], v25 offset0:144 offset1:234
	ds_read2_b32 v[23:24], v30 offset0:48 offset1:138
	;; [unrolled: 1-line block ×5, first 2 shown]
	s_waitcnt lgkmcnt(0)
	s_barrier
	buffer_gl0_inv
	s_mov_b32 s1, exec_lo
	v_lshrrev_b32_e32 v1, 16, v17
	v_sub_f16_e32 v36, v19, v9
	v_add_f16_e32 v26, v9, v7
	v_add_f16_e32 v32, v19, v5
	v_sub_f16_sdwa v34, v9, v7 dst_sel:DWORD dst_unused:UNUSED_PAD src0_sel:WORD_1 src1_sel:WORD_1
	v_sub_f16_e32 v35, v5, v7
	v_sub_f16_e32 v37, v7, v5
	v_fma_f16 v26, -0.5, v26, v17
	v_fma_f16 v38, -0.5, v32, v17
	v_pk_add_f16 v17, v17, v19
	v_sub_f16_e32 v32, v9, v19
	v_sub_f16_sdwa v33, v19, v5 dst_sel:DWORD dst_unused:UNUSED_PAD src0_sel:WORD_1 src1_sel:WORD_1
	v_add_f16_sdwa v39, v9, v7 dst_sel:DWORD dst_unused:UNUSED_PAD src0_sel:WORD_1 src1_sel:WORD_1
	v_fmamk_f16 v42, v34, 0x3b9c, v38
	v_pk_add_f16 v17, v17, v9
	v_sub_f16_e32 v43, v19, v5
	v_add_f16_e32 v36, v36, v35
	v_add_f16_e32 v32, v32, v37
	v_fmac_f16_e32 v38, 0xbb9c, v34
	v_pk_add_f16 v17, v17, v7
	v_add_f16_sdwa v35, v19, v5 dst_sel:DWORD dst_unused:UNUSED_PAD src0_sel:WORD_1 src1_sel:WORD_1
	v_sub_f16_e32 v44, v9, v7
	v_sub_f16_sdwa v37, v19, v9 dst_sel:DWORD dst_unused:UNUSED_PAD src0_sel:WORD_1 src1_sel:WORD_1
	v_sub_f16_sdwa v41, v5, v7 dst_sel:DWORD dst_unused:UNUSED_PAD src0_sel:WORD_1 src1_sel:WORD_1
	v_pk_add_f16 v46, v17, v5
	v_sub_f16_sdwa v9, v9, v19 dst_sel:DWORD dst_unused:UNUSED_PAD src0_sel:WORD_1 src1_sel:WORD_1
	v_sub_f16_sdwa v5, v7, v5 dst_sel:DWORD dst_unused:UNUSED_PAD src0_sel:WORD_1 src1_sel:WORD_1
	v_fmac_f16_e32 v42, 0xb8b4, v33
	v_fma_f16 v39, -0.5, v39, v1
	v_fmac_f16_e32 v38, 0x38b4, v33
	v_fmac_f16_e32 v1, -0.5, v35
	v_add_f16_e32 v5, v9, v5
	v_add_f16_sdwa v7, v15, v13 dst_sel:DWORD dst_unused:UNUSED_PAD src0_sel:WORD_1 src1_sel:WORD_1
	v_lshrrev_b32_e32 v9, 16, v21
	v_fmac_f16_e32 v42, 0x34f2, v32
	v_fmac_f16_e32 v38, 0x34f2, v32
	v_fmamk_f16 v49, v44, 0xbb9c, v1
	v_add_f16_e32 v17, v15, v13
	v_fmac_f16_e32 v1, 0x3b9c, v44
	v_fma_f16 v52, -0.5, v7, v9
	v_sub_f16_e32 v53, v23, v11
	v_add_f16_e32 v32, v23, v11
	v_add_f16_e32 v47, v37, v41
	v_fmac_f16_e32 v49, 0x38b4, v43
	v_fma_f16 v50, -0.5, v17, v21
	v_sub_f16_sdwa v48, v23, v11 dst_sel:DWORD dst_unused:UNUSED_PAD src0_sel:WORD_1 src1_sel:WORD_1
	v_sub_f16_sdwa v51, v15, v13 dst_sel:DWORD dst_unused:UNUSED_PAD src0_sel:WORD_1 src1_sel:WORD_1
	v_fmac_f16_e32 v1, 0xb8b4, v43
	v_sub_f16_e32 v7, v11, v13
	v_sub_f16_e32 v19, v23, v15
	v_fmamk_f16 v35, v53, 0x3b9c, v52
	v_sub_f16_e32 v54, v15, v13
	v_sub_f16_sdwa v37, v23, v15 dst_sel:DWORD dst_unused:UNUSED_PAD src0_sel:WORD_1 src1_sel:WORD_1
	v_sub_f16_sdwa v41, v11, v13 dst_sel:DWORD dst_unused:UNUSED_PAD src0_sel:WORD_1 src1_sel:WORD_1
	v_fma_f16 v32, -0.5, v32, v21
	v_fmamk_f16 v17, v48, 0xbb9c, v50
	v_fmac_f16_e32 v49, 0x34f2, v5
	v_add_f16_e32 v55, v19, v7
	v_fmac_f16_e32 v1, 0x34f2, v5
	v_fmac_f16_e32 v35, 0x38b4, v54
	v_add_f16_e32 v5, v37, v41
	v_fmamk_f16 v19, v51, 0x3b9c, v32
	v_sub_f16_e32 v7, v13, v11
	v_sub_f16_e32 v37, v15, v23
	v_fmac_f16_e32 v32, 0xbb9c, v51
	v_fmac_f16_e32 v17, 0xb8b4, v51
	;; [unrolled: 1-line block ×4, first 2 shown]
	v_pk_add_f16 v21, v21, v23
	v_add_f16_e32 v7, v37, v7
	v_fmac_f16_e32 v32, 0x38b4, v48
	v_fmamk_f16 v40, v33, 0xbb9c, v26
	v_fmamk_f16 v45, v43, 0x3b9c, v39
	v_fmac_f16_e32 v17, 0x34f2, v55
	v_mul_f16_e32 v56, 0xb8b4, v35
	v_pk_add_f16 v21, v21, v15
	v_fmac_f16_e32 v19, 0x34f2, v7
	v_fmac_f16_e32 v32, 0x34f2, v7
	v_add_f16_sdwa v7, v23, v11 dst_sel:DWORD dst_unused:UNUSED_PAD src0_sel:WORD_1 src1_sel:WORD_1
	v_fmac_f16_e32 v40, 0xb8b4, v34
	v_fmac_f16_e32 v45, 0x38b4, v44
	v_mul_f16_e32 v57, 0x38b4, v17
	v_fmac_f16_e32 v56, 0x3a79, v17
	v_pk_add_f16 v17, v21, v13
	v_fmac_f16_e32 v9, -0.5, v7
	v_fmac_f16_e32 v40, 0x34f2, v36
	v_fmac_f16_e32 v45, 0x34f2, v47
	;; [unrolled: 1-line block ×3, first 2 shown]
	v_pk_add_f16 v58, v17, v11
	v_sub_f16_sdwa v15, v15, v23 dst_sel:DWORD dst_unused:UNUSED_PAD src0_sel:WORD_1 src1_sel:WORD_1
	v_sub_f16_sdwa v11, v13, v11 dst_sel:DWORD dst_unused:UNUSED_PAD src0_sel:WORD_1 src1_sel:WORD_1
	v_fmamk_f16 v13, v54, 0xbb9c, v9
	v_fmac_f16_e32 v9, 0x3b9c, v54
	v_add_f16_e32 v21, v40, v56
	v_add_f16_e32 v35, v45, v57
	;; [unrolled: 1-line block ×3, first 2 shown]
	v_mad_u32_u24 v7, v0, 36, v25
	v_fmac_f16_e32 v9, 0xb8b4, v53
	v_fmac_f16_e32 v13, 0x38b4, v53
	v_pack_b32_f16 v17, v21, v35
	v_pk_add_f16 v21, v46, v58
	v_fmac_f16_e32 v52, 0xbb9c, v53
	v_fmac_f16_e32 v9, 0x34f2, v11
	;; [unrolled: 1-line block ×4, first 2 shown]
	ds_write2_b32 v7, v21, v17 offset1:1
	v_fmac_f16_e32 v50, 0x3b9c, v48
	v_mul_f16_e32 v15, 0xbb9c, v9
	v_mul_f16_e32 v21, 0xb4f2, v9
	v_mul_f16_e32 v23, 0xbb9c, v13
	v_mul_f16_e32 v59, 0x34f2, v13
	v_fmac_f16_e32 v52, 0xb8b4, v54
	v_fmac_f16_e32 v15, 0xb4f2, v32
	;; [unrolled: 1-line block ×6, first 2 shown]
	v_add_f16_e32 v9, v38, v15
	v_add_f16_e32 v11, v1, v21
	v_fmac_f16_e32 v39, 0xbb9c, v43
	v_add_f16_e32 v13, v49, v59
	v_fmac_f16_e32 v50, 0x38b4, v51
	v_fmac_f16_e32 v52, 0x34f2, v5
	v_pack_b32_f16 v9, v9, v11
	v_add_f16_e32 v11, v42, v23
	v_fmac_f16_e32 v26, 0x34f2, v36
	v_fmac_f16_e32 v39, 0xb8b4, v44
	v_add_f16_e32 v33, v16, v14
	v_fmac_f16_e32 v50, 0x34f2, v55
	v_pack_b32_f16 v11, v11, v13
	v_mul_f16_e32 v34, 0xb8b4, v52
	v_mul_f16_e32 v36, 0xba79, v52
	v_fmac_f16_e32 v39, 0x34f2, v47
	v_fma_f16 v48, -0.5, v33, v22
	ds_write2_b32 v7, v11, v9 offset0:2 offset1:3
	v_sub_f16_e32 v9, v6, v8
	v_sub_f16_e32 v11, v20, v10
	v_fmac_f16_e32 v34, 0xba79, v50
	v_fmac_f16_e32 v36, 0x38b4, v50
	v_sub_f16_e32 v33, v40, v56
	v_sub_f16_e32 v23, v42, v23
	v_add_f16_e32 v17, v11, v9
	v_sub_f16_e32 v9, v8, v6
	v_sub_f16_e32 v11, v10, v20
	;; [unrolled: 1-line block ×4, first 2 shown]
	v_add_f16_sdwa v47, v16, v14 dst_sel:DWORD dst_unused:UNUSED_PAD src0_sel:WORD_1 src1_sel:WORD_1
	v_add_f16_e32 v42, v26, v34
	v_add_f16_e32 v19, v11, v9
	v_sub_f16_sdwa v9, v20, v10 dst_sel:DWORD dst_unused:UNUSED_PAD src0_sel:WORD_1 src1_sel:WORD_1
	v_sub_f16_sdwa v11, v6, v8 dst_sel:DWORD dst_unused:UNUSED_PAD src0_sel:WORD_1 src1_sel:WORD_1
	v_add_f16_e32 v50, v39, v36
	v_lshrrev_b32_e32 v40, 16, v22
	v_pack_b32_f16 v23, v23, v51
	v_pack_b32_f16 v33, v33, v45
	v_add_f16_e32 v32, v9, v11
	v_add_f16_sdwa v11, v10, v8 dst_sel:DWORD dst_unused:UNUSED_PAD src0_sel:WORD_1 src1_sel:WORD_1
	v_lshrrev_b32_e32 v9, 16, v18
	v_pk_add_f16 v46, v46, v58 neg_lo:[0,1] neg_hi:[0,1]
	v_pack_b32_f16 v42, v42, v50
	v_fma_f16 v53, -0.5, v47, v40
	v_sub_f16_e32 v47, v24, v12
	v_fma_f16 v41, -0.5, v11, v9
	v_add_f16_sdwa v11, v20, v6 dst_sel:DWORD dst_unused:UNUSED_PAD src0_sel:WORD_1 src1_sel:WORD_1
	ds_write2_b32 v7, v33, v23 offset0:6 offset1:7
	v_sub_f16_sdwa v23, v16, v24 dst_sel:DWORD dst_unused:UNUSED_PAD src0_sel:WORD_1 src1_sel:WORD_1
	v_sub_f16_sdwa v33, v14, v12 dst_sel:DWORD dst_unused:UNUSED_PAD src0_sel:WORD_1 src1_sel:WORD_1
	;; [unrolled: 1-line block ×3, first 2 shown]
	v_fmac_f16_e32 v9, -0.5, v11
	v_sub_f16_sdwa v11, v10, v20 dst_sel:DWORD dst_unused:UNUSED_PAD src0_sel:WORD_1 src1_sel:WORD_1
	v_sub_f16_sdwa v44, v24, v12 dst_sel:DWORD dst_unused:UNUSED_PAD src0_sel:WORD_1 src1_sel:WORD_1
	;; [unrolled: 1-line block ×3, first 2 shown]
	ds_write2_b32 v7, v42, v46 offset0:4 offset1:5
	v_sub_f16_sdwa v42, v12, v14 dst_sel:DWORD dst_unused:UNUSED_PAD src0_sel:WORD_1 src1_sel:WORD_1
	v_add_f16_sdwa v46, v24, v12 dst_sel:DWORD dst_unused:UNUSED_PAD src0_sel:WORD_1 src1_sel:WORD_1
	v_add_f16_e32 v50, v23, v33
	v_fmamk_f16 v23, v47, 0x3b9c, v53
	v_sub_f16_e32 v52, v16, v14
	v_add_f16_e32 v35, v11, v13
	v_sub_f16_e32 v11, v12, v14
	v_sub_f16_e32 v13, v24, v16
	v_fmamk_f16 v56, v44, 0xbb9c, v48
	v_add_f16_e32 v54, v45, v42
	v_sub_f16_sdwa v51, v16, v14 dst_sel:DWORD dst_unused:UNUSED_PAD src0_sel:WORD_1 src1_sel:WORD_1
	v_fmac_f16_e32 v40, -0.5, v46
	v_fmac_f16_e32 v23, 0x38b4, v52
	v_add_f16_e32 v37, v13, v11
	v_sub_f16_e32 v11, v14, v12
	v_sub_f16_e32 v13, v16, v24
	v_add_f16_e32 v42, v24, v12
	v_sub_f16_e32 v33, v38, v15
	v_sub_f16_e32 v15, v26, v34
	v_add_f16_e32 v26, v20, v6
	v_fmac_f16_e32 v56, 0xb8b4, v51
	v_sub_f16_e32 v34, v39, v36
	v_fmamk_f16 v38, v52, 0xbb9c, v40
	v_fmac_f16_e32 v23, 0x34f2, v54
	v_add_f16_e32 v13, v13, v11
	v_add_f16_e32 v11, v10, v8
	v_fma_f16 v46, -0.5, v42, v22
	v_fma_f16 v45, -0.5, v26, v18
	v_fmac_f16_e32 v56, 0x34f2, v37
	v_fmac_f16_e32 v38, 0x38b4, v47
	v_pack_b32_f16 v26, v15, v34
	v_mul_f16_e32 v15, 0xb8b4, v23
	v_fma_f16 v11, -0.5, v11, v18
	v_sub_f16_sdwa v43, v20, v6 dst_sel:DWORD dst_unused:UNUSED_PAD src0_sel:WORD_1 src1_sel:WORD_1
	v_sub_f16_sdwa v49, v10, v8 dst_sel:DWORD dst_unused:UNUSED_PAD src0_sel:WORD_1 src1_sel:WORD_1
	v_sub_f16_e32 v1, v1, v21
	v_fmamk_f16 v21, v51, 0x3b9c, v46
	v_sub_f16_e32 v55, v20, v6
	v_fmac_f16_e32 v38, 0x34f2, v50
	v_fmac_f16_e32 v15, 0x3a79, v56
	v_mul_f16_e32 v36, 0x38b4, v56
	v_sub_f16_e32 v56, v10, v8
	v_fmamk_f16 v5, v43, 0xbb9c, v11
	v_fmac_f16_e32 v21, 0xb8b4, v44
	v_pack_b32_f16 v1, v33, v1
	v_mul_f16_e32 v33, 0xbb9c, v38
	v_mul_f16_e32 v39, 0x34f2, v38
	v_fmamk_f16 v34, v49, 0x3b9c, v45
	v_fmamk_f16 v38, v55, 0x3b9c, v41
	;; [unrolled: 1-line block ×3, first 2 shown]
	v_fmac_f16_e32 v21, 0x34f2, v13
	v_fmac_f16_e32 v5, 0xb8b4, v49
	;; [unrolled: 1-line block ×12, first 2 shown]
	ds_write2_b32 v7, v1, v26 offset0:8 offset1:9
	v_sub_f16_e32 v1, v5, v15
	v_sub_f16_e32 v21, v34, v33
	;; [unrolled: 1-line block ×4, first 2 shown]
	v_cmpx_gt_u32_e32 54, v0
	s_cbranch_execz .LBB0_15
; %bb.14:
	v_mul_f16_e32 v57, 0x3b9c, v55
	v_mul_f16_e32 v54, 0x34f2, v54
	;; [unrolled: 1-line block ×5, first 2 shown]
	v_sub_f16_e32 v41, v41, v57
	v_mul_f16_e32 v57, 0x3b9c, v47
	v_add_f16_e32 v48, v48, v58
	v_mul_f16_e32 v58, 0x38b4, v51
	v_mul_f16_e32 v51, 0x3b9c, v51
	;; [unrolled: 1-line block ×3, first 2 shown]
	v_sub_f16_e32 v53, v53, v57
	v_mul_f16_e32 v57, 0x38b4, v52
	v_mul_f16_e32 v52, 0x3b9c, v52
	;; [unrolled: 1-line block ×5, first 2 shown]
	v_sub_f16_e32 v53, v53, v57
	v_add_f16_e32 v40, v52, v40
	v_mul_f16_e32 v57, 0x38b4, v49
	v_mul_f16_e32 v49, 0x3b9c, v49
	v_add_f16_e32 v48, v58, v48
	v_add_f16_e32 v53, v54, v53
	v_mul_f16_e32 v54, 0x38b4, v56
	v_mul_f16_e32 v56, 0x3b9c, v56
	v_sub_f16_e32 v40, v40, v47
	v_mul_f16_e32 v58, 0x3b9c, v43
	v_pk_add_f16 v18, v18, v20
	v_sub_f16_e32 v41, v41, v54
	v_add_f16_e32 v9, v56, v9
	v_pk_add_f16 v20, v22, v24
	v_mul_f16_e32 v43, 0x38b4, v43
	v_mul_f16_e32 v13, 0x34f2, v13
	v_add_f16_e32 v32, v32, v41
	v_sub_f16_e32 v41, v46, v51
	v_sub_f16_e32 v9, v9, v55
	v_add_f16_e32 v40, v50, v40
	v_mul_f16_e32 v37, 0x34f2, v37
	v_add_f16_e32 v11, v11, v58
	v_add_f16_e32 v41, v44, v41
	;; [unrolled: 1-line block ×3, first 2 shown]
	v_sub_f16_e32 v35, v45, v49
	v_pk_add_f16 v10, v18, v10
	v_pk_add_f16 v16, v20, v16
	v_mul_f16_e32 v19, 0x34f2, v19
	v_add_f16_e32 v13, v13, v41
	v_mul_f16_e32 v41, 0xb4f2, v40
	v_add_f16_e32 v35, v43, v35
	v_mul_f16_e32 v40, 0x3b9c, v40
	v_mul_f16_e32 v17, 0x34f2, v17
	v_add_f16_e32 v37, v37, v48
	v_mul_f16_e32 v48, 0xba79, v53
	v_add_f16_e32 v11, v57, v11
	v_mul_f16_e32 v44, 0x38b4, v53
	v_pk_add_f16 v8, v10, v8
	v_pk_add_f16 v10, v16, v14
	v_fmac_f16_e32 v41, 0x3b9c, v13
	v_add_f16_e32 v19, v19, v35
	v_fma_f16 v13, v13, 0xb4f2, -v40
	v_fmac_f16_e32 v48, 0x38b4, v37
	v_add_f16_e32 v11, v17, v11
	v_fma_f16 v17, v37, 0xba79, -v44
	v_add_f16_e32 v14, v38, v36
	v_mul_i32_i24_e32 v16, 10, v4
	v_pk_add_f16 v6, v8, v6
	v_pk_add_f16 v8, v10, v12
	v_add_f16_e32 v5, v5, v15
	v_sub_f16_e32 v22, v9, v41
	v_add_f16_e32 v9, v9, v41
	v_add_f16_e32 v20, v42, v39
	;; [unrolled: 1-line block ×4, first 2 shown]
	v_sub_f16_e32 v24, v11, v17
	v_add_f16_e32 v18, v32, v48
	v_add_f16_e32 v11, v11, v17
	v_sub_f16_e32 v46, v32, v48
	v_sub_f16_e32 v35, v19, v13
	v_lshl_add_u32 v13, v16, 2, 0
	v_pk_add_f16 v15, v6, v8
	v_pack_b32_f16 v5, v5, v14
	v_pack_b32_f16 v9, v10, v9
	;; [unrolled: 1-line block ×3, first 2 shown]
	v_pk_add_f16 v6, v6, v8 neg_lo:[0,1] neg_hi:[0,1]
	v_pack_b32_f16 v8, v11, v18
	v_perm_b32 v11, v26, v21, 0x5040100
	v_perm_b32 v12, v23, v1, 0x5040100
	v_pack_b32_f16 v14, v24, v46
	v_pack_b32_f16 v16, v35, v22
	ds_write2_b32 v13, v15, v5 offset1:1
	ds_write2_b32 v13, v10, v9 offset0:2 offset1:3
	ds_write2_b32 v13, v8, v6 offset0:4 offset1:5
	;; [unrolled: 1-line block ×4, first 2 shown]
.LBB0_15:
	s_or_b32 exec_lo, exec_lo, s1
	v_and_b32_e32 v5, 0xff, v0
	v_mov_b32_e32 v8, 15
	s_waitcnt lgkmcnt(0)
	s_barrier
	buffer_gl0_inv
	v_mul_lo_u16 v5, 0xcd, v5
	v_lshl_add_u32 v19, v4, 2, 0
	v_add_nc_u32_e32 v51, 0x1200, v25
	v_cmp_gt_u32_e64 s0, 30, v0
	v_lshrrev_b16 v6, 11, v5
	v_mul_lo_u16 v5, v6, 10
	v_sub_nc_u16 v20, v0, v5
	v_mul_u32_u24_sdwa v5, v20, v8 dst_sel:DWORD dst_unused:UNUSED_PAD src0_sel:BYTE_0 src1_sel:DWORD
	v_mad_i32_i24 v8, 0xffffffdc, v0, v7
	v_lshlrev_b32_e32 v5, 2, v5
	v_add_nc_u32_e32 v24, 0x400, v8
	s_clause 0x3
	global_load_dwordx4 v[9:12], v5, s[8:9]
	global_load_dwordx4 v[13:16], v5, s[8:9] offset:16
	global_load_dwordx4 v[32:35], v5, s[8:9] offset:32
	global_load_dwordx3 v[36:38], v5, s[8:9] offset:48
	v_add_nc_u32_e32 v5, 0x200, v8
	ds_read2_b32 v[17:18], v27 offset0:28 offset1:118
	ds_read2_b32 v[39:40], v31 offset0:80 offset1:170
	;; [unrolled: 1-line block ×3, first 2 shown]
	ds_read_b32 v22, v19
	ds_read2_b32 v[43:44], v28 offset0:132 offset1:222
	ds_read_b32 v52, v25
	ds_read2_b32 v[45:46], v24 offset0:104 offset1:194
	ds_read2_b32 v[47:48], v29 offset0:56 offset1:146
	;; [unrolled: 1-line block ×3, first 2 shown]
	v_mov_b32_e32 v31, 0xa0
	s_waitcnt vmcnt(0) lgkmcnt(0)
	s_barrier
	buffer_gl0_inv
	v_mul_u32_u24_sdwa v6, v6, v31 dst_sel:DWORD dst_unused:UNUSED_PAD src0_sel:WORD_0 src1_sel:DWORD
	v_or_b32_sdwa v6, v6, v20 dst_sel:DWORD dst_unused:UNUSED_PAD src0_sel:DWORD src1_sel:BYTE_0
	v_lshrrev_b32_e32 v24, 16, v17
	v_lshrrev_b32_e32 v31, 16, v18
	;; [unrolled: 1-line block ×8, first 2 shown]
	v_lshl_add_u32 v6, v6, 2, 0
	v_mul_f16_sdwa v59, v10, v54 dst_sel:DWORD dst_unused:UNUSED_PAD src0_sel:WORD_1 src1_sel:DWORD
	v_mul_f16_sdwa v60, v11, v55 dst_sel:DWORD dst_unused:UNUSED_PAD src0_sel:WORD_1 src1_sel:DWORD
	;; [unrolled: 1-line block ×5, first 2 shown]
	v_fmac_f16_e32 v59, v10, v41
	v_fmac_f16_e32 v60, v11, v42
	v_mul_f16_sdwa v41, v11, v42 dst_sel:DWORD dst_unused:UNUSED_PAD src0_sel:WORD_1 src1_sel:DWORD
	v_lshrrev_b32_e32 v42, 16, v45
	v_mul_f16_sdwa v20, v24, v14 dst_sel:DWORD dst_unused:UNUSED_PAD src0_sel:DWORD src1_sel:WORD_1
	v_fmac_f16_e32 v61, v9, v22
	v_fma_f16 v9, v9, v56, -v62
	v_fma_f16 v10, v10, v54, -v63
	v_mul_f16_sdwa v54, v12, v42 dst_sel:DWORD dst_unused:UNUSED_PAD src0_sel:WORD_1 src1_sel:DWORD
	v_fma_f16 v11, v11, v55, -v41
	v_lshrrev_b32_e32 v41, 16, v46
	v_mul_f16_sdwa v62, v31, v15 dst_sel:DWORD dst_unused:UNUSED_PAD src0_sel:DWORD src1_sel:WORD_1
	v_mul_f16_sdwa v63, v17, v14 dst_sel:DWORD dst_unused:UNUSED_PAD src0_sel:DWORD src1_sel:WORD_1
	v_fmac_f16_e32 v20, v17, v14
	v_mul_f16_sdwa v17, v18, v15 dst_sel:DWORD dst_unused:UNUSED_PAD src0_sel:DWORD src1_sel:WORD_1
	v_mul_f16_sdwa v56, v12, v45 dst_sel:DWORD dst_unused:UNUSED_PAD src0_sel:WORD_1 src1_sel:DWORD
	v_fmac_f16_e32 v54, v12, v45
	v_mul_f16_sdwa v45, v41, v13 dst_sel:DWORD dst_unused:UNUSED_PAD src0_sel:DWORD src1_sel:WORD_1
	v_fmac_f16_e32 v62, v18, v15
	v_fma_f16 v14, v24, v14, -v63
	v_mul_f16_sdwa v24, v39, v16 dst_sel:DWORD dst_unused:UNUSED_PAD src0_sel:DWORD src1_sel:WORD_1
	v_fma_f16 v15, v31, v15, -v17
	v_mul_f16_sdwa v17, v53, v16 dst_sel:DWORD dst_unused:UNUSED_PAD src0_sel:DWORD src1_sel:WORD_1
	v_lshrrev_b32_e32 v22, 16, v44
	v_lshrrev_b32_e32 v55, 16, v47
	v_fmac_f16_e32 v45, v46, v13
	v_mul_f16_sdwa v46, v46, v13 dst_sel:DWORD dst_unused:UNUSED_PAD src0_sel:DWORD src1_sel:WORD_1
	v_fma_f16 v24, v53, v16, -v24
	v_mul_f16_sdwa v31, v57, v32 dst_sel:DWORD dst_unused:UNUSED_PAD src0_sel:DWORD src1_sel:WORD_1
	v_fmac_f16_e32 v17, v39, v16
	v_mul_f16_sdwa v16, v58, v33 dst_sel:DWORD dst_unused:UNUSED_PAD src0_sel:DWORD src1_sel:WORD_1
	v_fma_f16 v42, v12, v42, -v56
	v_lshrrev_b32_e32 v12, 16, v48
	v_lshrrev_b32_e32 v18, 16, v49
	v_fma_f16 v13, v41, v13, -v46
	v_lshrrev_b32_e32 v41, 16, v50
	v_mul_f16_sdwa v39, v22, v34 dst_sel:DWORD dst_unused:UNUSED_PAD src0_sel:DWORD src1_sel:WORD_1
	v_mul_f16_sdwa v46, v40, v32 dst_sel:DWORD dst_unused:UNUSED_PAD src0_sel:DWORD src1_sel:WORD_1
	;; [unrolled: 1-line block ×3, first 2 shown]
	v_fmac_f16_e32 v31, v40, v32
	v_mul_f16_sdwa v40, v44, v34 dst_sel:DWORD dst_unused:UNUSED_PAD src0_sel:DWORD src1_sel:WORD_1
	v_mul_f16_sdwa v63, v47, v35 dst_sel:DWORD dst_unused:UNUSED_PAD src0_sel:DWORD src1_sel:WORD_1
	v_fmac_f16_e32 v16, v43, v33
	v_mul_f16_sdwa v43, v55, v35 dst_sel:DWORD dst_unused:UNUSED_PAD src0_sel:DWORD src1_sel:WORD_1
	v_fmac_f16_e32 v39, v44, v34
	v_mul_f16_sdwa v44, v12, v36 dst_sel:DWORD dst_unused:UNUSED_PAD src0_sel:DWORD src1_sel:WORD_1
	v_fma_f16 v32, v57, v32, -v46
	v_mul_f16_sdwa v46, v48, v36 dst_sel:DWORD dst_unused:UNUSED_PAD src0_sel:DWORD src1_sel:WORD_1
	v_fma_f16 v33, v58, v33, -v53
	;; [unrolled: 2-line block ×4, first 2 shown]
	v_mul_f16_sdwa v55, v41, v38 dst_sel:DWORD dst_unused:UNUSED_PAD src0_sel:DWORD src1_sel:WORD_1
	v_fmac_f16_e32 v43, v47, v35
	v_mul_f16_sdwa v35, v50, v38 dst_sel:DWORD dst_unused:UNUSED_PAD src0_sel:DWORD src1_sel:WORD_1
	v_lshrrev_b32_e32 v56, 16, v52
	v_fmac_f16_e32 v44, v48, v36
	v_fma_f16 v12, v12, v36, -v46
	v_fma_f16 v18, v18, v37, -v53
	v_fmac_f16_e32 v34, v49, v37
	v_fmac_f16_e32 v55, v50, v38
	v_fma_f16 v35, v41, v38, -v35
	v_sub_f16_e32 v17, v52, v17
	v_sub_f16_e32 v24, v56, v24
	;; [unrolled: 1-line block ×16, first 2 shown]
	v_fma_f16 v41, v52, 2.0, -v17
	v_fma_f16 v43, v56, 2.0, -v24
	;; [unrolled: 1-line block ×16, first 2 shown]
	v_add_f16_e32 v37, v17, v37
	v_sub_f16_e32 v36, v24, v36
	v_add_f16_e32 v18, v16, v18
	v_sub_f16_e32 v34, v33, v34
	;; [unrolled: 2-line block ×4, first 2 shown]
	v_sub_f16_e32 v44, v41, v44
	v_sub_f16_e32 v42, v43, v42
	v_fma_f16 v17, v17, 2.0, -v37
	v_fma_f16 v50, v24, 2.0, -v36
	v_sub_f16_e32 v20, v46, v20
	v_sub_f16_e32 v14, v10, v14
	v_fma_f16 v16, v16, 2.0, -v18
	v_fma_f16 v24, v33, 2.0, -v34
	;; [unrolled: 4-line block ×4, first 2 shown]
	v_fmamk_f16 v49, v18, 0x39a8, v37
	v_fmamk_f16 v52, v34, 0x39a8, v36
	;; [unrolled: 1-line block ×4, first 2 shown]
	v_fma_f16 v46, v46, 2.0, -v20
	v_fma_f16 v10, v10, 2.0, -v14
	;; [unrolled: 1-line block ×4, first 2 shown]
	v_fmamk_f16 v55, v16, 0xb9a8, v17
	v_fmamk_f16 v56, v24, 0xb9a8, v50
	v_add_f16_e32 v14, v44, v14
	v_sub_f16_e32 v20, v42, v20
	v_fmac_f16_e32 v49, 0x39a8, v34
	v_fmac_f16_e32 v52, 0xb9a8, v18
	v_fmamk_f16 v18, v39, 0xb9a8, v31
	v_fmamk_f16 v34, v22, 0xb9a8, v32
	v_add_f16_e32 v15, v33, v15
	v_sub_f16_e32 v45, v13, v45
	v_fmac_f16_e32 v53, 0x39a8, v40
	v_fmac_f16_e32 v54, 0xb9a8, v35
	v_fma_f16 v41, v41, 2.0, -v44
	v_fma_f16 v43, v43, 2.0, -v42
	;; [unrolled: 1-line block ×4, first 2 shown]
	v_fmac_f16_e32 v55, 0x39a8, v24
	v_fmac_f16_e32 v56, 0xb9a8, v16
	v_fma_f16 v16, v44, 2.0, -v14
	v_fma_f16 v40, v42, 2.0, -v20
	v_fmac_f16_e32 v18, 0x39a8, v22
	v_fmac_f16_e32 v34, 0xb9a8, v39
	v_fma_f16 v33, v33, 2.0, -v15
	v_fma_f16 v13, v13, 2.0, -v45
	;; [unrolled: 1-line block ×6, first 2 shown]
	v_fmamk_f16 v39, v15, 0x39a8, v14
	v_fmamk_f16 v44, v45, 0x39a8, v20
	;; [unrolled: 1-line block ×4, first 2 shown]
	v_sub_f16_e32 v35, v41, v46
	v_sub_f16_e32 v10, v43, v10
	;; [unrolled: 1-line block ×4, first 2 shown]
	v_fma_f16 v17, v17, 2.0, -v55
	v_fma_f16 v46, v50, 2.0, -v56
	;; [unrolled: 1-line block ×4, first 2 shown]
	v_fmamk_f16 v48, v33, 0xb9a8, v16
	v_fmamk_f16 v50, v13, 0xb9a8, v40
	v_fmac_f16_e32 v39, 0x39a8, v45
	v_fmamk_f16 v45, v12, 0xb61f, v37
	v_fmac_f16_e32 v44, 0xb9a8, v15
	;; [unrolled: 2-line block ×4, first 2 shown]
	v_fmamk_f16 v53, v34, 0x361f, v56
	v_fma_f16 v47, v47, 2.0, -v42
	v_fma_f16 v9, v9, 2.0, -v11
	v_add_f16_e32 v11, v35, v11
	v_sub_f16_e32 v42, v10, v42
	v_fma_f16 v41, v41, 2.0, -v35
	v_fma_f16 v43, v43, 2.0, -v10
	v_fmac_f16_e32 v48, 0x39a8, v13
	v_fmamk_f16 v13, v31, 0xbb64, v17
	v_fmac_f16_e32 v50, 0xb9a8, v33
	v_fmamk_f16 v33, v32, 0xbb64, v46
	v_fmac_f16_e32 v45, 0x3b64, v38
	v_fmac_f16_e32 v15, 0xbb64, v12
	;; [unrolled: 1-line block ×4, first 2 shown]
	v_fma_f16 v12, v35, 2.0, -v11
	v_fma_f16 v10, v10, 2.0, -v42
	;; [unrolled: 1-line block ×6, first 2 shown]
	v_sub_f16_e32 v47, v41, v47
	v_sub_f16_e32 v9, v43, v9
	v_fmac_f16_e32 v13, 0x361f, v32
	v_fmac_f16_e32 v33, 0xb61f, v31
	v_fma_f16 v16, v16, 2.0, -v48
	v_fma_f16 v31, v40, 2.0, -v50
	;; [unrolled: 1-line block ×6, first 2 shown]
	v_pack_b32_f16 v10, v12, v10
	v_pack_b32_f16 v12, v14, v18
	;; [unrolled: 1-line block ×5, first 2 shown]
	v_fma_f16 v39, v41, 2.0, -v47
	v_fma_f16 v41, v43, 2.0, -v9
	;; [unrolled: 1-line block ×4, first 2 shown]
	v_pack_b32_f16 v11, v11, v42
	v_pack_b32_f16 v18, v48, v50
	;; [unrolled: 1-line block ×8, first 2 shown]
	ds_write2_b32 v6, v12, v14 offset0:60 offset1:70
	v_pack_b32_f16 v12, v13, v33
	ds_write2_b32 v6, v35, v38 offset0:140 offset1:150
	v_pack_b32_f16 v35, v39, v41
	v_pack_b32_f16 v13, v17, v34
	ds_write2_b32 v6, v18, v15 offset0:100 offset1:110
	ds_write2_b32 v6, v11, v20 offset0:120 offset1:130
	ds_write2_b32 v6, v16, v31 offset0:20 offset1:30
	ds_write2_b32 v6, v10, v32 offset0:40 offset1:50
	ds_write2_b32 v6, v9, v12 offset0:80 offset1:90
	ds_write2_b32 v6, v35, v13 offset1:10
	s_waitcnt lgkmcnt(0)
	s_barrier
	buffer_gl0_inv
	ds_read2_b32 v[17:18], v30 offset0:96 offset1:186
	ds_read2_b32 v[9:10], v28 offset0:72 offset1:192
	ds_read_b32 v31, v19
	ds_read2_b32 v[15:16], v29 offset0:26 offset1:116
	ds_read2_b32 v[5:6], v5 offset0:52 offset1:142
	;; [unrolled: 1-line block ×4, first 2 shown]
	ds_read_b32 v32, v25
	ds_read_b32 v30, v8 offset:1440
	v_mul_i32_i24_e32 v8, 0xffffffdc, v0
	v_add_nc_u32_e32 v20, v7, v8
	s_and_saveexec_b32 s1, s0
	s_cbranch_execz .LBB0_17
; %bb.16:
	ds_read_b32 v22, v20 offset:1800
	ds_read_b32 v1, v25 offset:3720
	;; [unrolled: 1-line block ×3, first 2 shown]
	s_waitcnt lgkmcnt(2)
	v_lshrrev_b32_e32 v24, 16, v22
	s_waitcnt lgkmcnt(1)
	v_lshrrev_b32_e32 v23, 16, v1
	;; [unrolled: 2-line block ×3, first 2 shown]
.LBB0_17:
	s_or_b32 exec_lo, exec_lo, s1
	v_add_nc_u32_e32 v7, 0xffffffba, v0
	v_cmp_gt_u32_e64 s1, 0x46, v0
	v_mov_b32_e32 v34, 0
	v_lshlrev_b32_e32 v33, 1, v0
	v_add_nc_u32_e32 v28, 0x10e, v0
	v_mov_b32_e32 v41, 0xcccd
	v_cndmask_b32_e64 v47, v7, v4, s1
	v_mov_b32_e32 v36, v34
	v_lshlrev_b64 v[7:8], 2, v[33:34]
	v_add_nc_u32_e32 v33, 40, v33
	v_mul_u32_u24_sdwa v27, v28, v41 dst_sel:DWORD dst_unused:UNUSED_PAD src0_sel:WORD_0 src1_sel:DWORD
	v_lshlrev_b32_e32 v35, 1, v47
	v_add_nc_u32_e32 v29, 0x168, v0
	v_mov_b32_e32 v44, 3
	v_add_co_u32 v7, s1, s8, v7
	v_lshlrev_b64 v[35:36], 2, v[35:36]
	v_lshlrev_b64 v[33:34], 2, v[33:34]
	v_add_co_ci_u32_e64 v8, s1, s9, v8, s1
	v_lshrrev_b32_e32 v48, 23, v27
	v_add_nc_u32_e32 v27, 0x1c2, v0
	v_add_co_u32 v35, s1, s8, v35
	v_add_co_ci_u32_e64 v36, s1, s9, v36, s1
	v_add_co_u32 v33, s1, s8, v33
	v_add_co_ci_u32_e64 v34, s1, s9, v34, s1
	v_mul_u32_u24_sdwa v43, v29, v41 dst_sel:DWORD dst_unused:UNUSED_PAD src0_sel:WORD_0 src1_sel:DWORD
	s_clause 0x2
	global_load_dwordx2 v[37:38], v[7:8], off offset:600
	global_load_dwordx2 v[35:36], v[35:36], off offset:600
	;; [unrolled: 1-line block ×3, first 2 shown]
	v_mul_u32_u24_sdwa v33, v27, v41 dst_sel:DWORD dst_unused:UNUSED_PAD src0_sel:WORD_0 src1_sel:DWORD
	v_lshrrev_b32_e32 v41, 23, v43
	v_mul_lo_u16 v42, 0xa0, v48
	v_mov_b32_e32 v61, 2
	v_cmp_lt_u32_e64 s1, 0x45, v0
	v_lshrrev_b32_e32 v33, 23, v33
	v_mul_lo_u16 v43, 0xa0, v41
	v_sub_nc_u16 v34, v28, v42
	s_waitcnt lgkmcnt(8)
	v_lshrrev_b32_e32 v50, 16, v17
	s_waitcnt lgkmcnt(7)
	v_lshrrev_b32_e32 v51, 16, v10
	v_mul_lo_u16 v33, 0xa0, v33
	v_sub_nc_u16 v43, v29, v43
	v_lshlrev_b32_sdwa v42, v44, v34 dst_sel:DWORD dst_unused:UNUSED_PAD src0_sel:DWORD src1_sel:WORD_0
	v_cndmask_b32_e64 v64, 0, 0x780, s1
	v_lshlrev_b32_e32 v47, 2, v47
	v_sub_nc_u16 v33, v27, v33
	v_and_b32_e32 v49, 0xffff, v43
	global_load_dwordx2 v[41:42], v42, s[8:9] offset:600
	v_mul_u32_u24_e32 v48, 0x780, v48
	v_lshlrev_b32_sdwa v34, v61, v34 dst_sel:DWORD dst_unused:UNUSED_PAD src0_sel:DWORD src1_sel:WORD_0
	v_and_b32_e32 v33, 0xffff, v33
	v_lshlrev_b32_e32 v43, 3, v49
	v_lshrrev_b32_e32 v52, 16, v18
	v_add3_u32 v47, 0, v64, v47
	v_add3_u32 v34, 0, v48, v34
	v_lshlrev_b32_e32 v45, 3, v33
	s_clause 0x1
	global_load_dwordx2 v[43:44], v43, s[8:9] offset:600
	global_load_dwordx2 v[45:46], v45, s[8:9] offset:600
	v_lshl_add_u32 v48, v49, 2, 0
	s_waitcnt lgkmcnt(5)
	v_lshrrev_b32_e32 v53, 16, v15
	v_lshrrev_b32_e32 v54, 16, v16
	s_waitcnt lgkmcnt(3)
	v_lshrrev_b32_e32 v55, 16, v13
	v_lshrrev_b32_e32 v56, 16, v14
	s_waitcnt lgkmcnt(2)
	v_lshrrev_b32_e32 v57, 16, v11
	s_waitcnt lgkmcnt(1)
	v_lshrrev_b32_e32 v60, 16, v32
	v_lshrrev_b32_e32 v58, 16, v9
	;; [unrolled: 1-line block ×6, first 2 shown]
	s_waitcnt lgkmcnt(0)
	v_lshrrev_b32_e32 v65, 16, v30
	s_waitcnt vmcnt(0)
	s_barrier
	buffer_gl0_inv
	v_add_nc_u32_e32 v66, 0x700, v25
	v_add_nc_u32_e32 v69, 0xe00, v48
	v_mul_f16_sdwa v49, v37, v17 dst_sel:DWORD dst_unused:UNUSED_PAD src0_sel:WORD_1 src1_sel:DWORD
	v_mul_f16_sdwa v64, v38, v10 dst_sel:DWORD dst_unused:UNUSED_PAD src0_sel:WORD_1 src1_sel:DWORD
	;; [unrolled: 1-line block ×5, first 2 shown]
	v_fma_f16 v49, v37, v50, -v49
	v_fma_f16 v50, v38, v51, -v64
	v_fmac_f16_e32 v67, v37, v17
	v_fmac_f16_e32 v68, v38, v10
	v_mul_f16_sdwa v10, v35, v52 dst_sel:DWORD dst_unused:UNUSED_PAD src0_sel:WORD_1 src1_sel:DWORD
	v_mul_f16_sdwa v17, v35, v18 dst_sel:DWORD dst_unused:UNUSED_PAD src0_sel:WORD_1 src1_sel:DWORD
	v_mul_f16_sdwa v37, v36, v15 dst_sel:DWORD dst_unused:UNUSED_PAD src0_sel:WORD_1 src1_sel:DWORD
	v_mul_f16_sdwa v38, v36, v53 dst_sel:DWORD dst_unused:UNUSED_PAD src0_sel:WORD_1 src1_sel:DWORD
	v_mul_f16_sdwa v51, v40, v54 dst_sel:DWORD dst_unused:UNUSED_PAD src0_sel:WORD_1 src1_sel:DWORD
	v_mul_f16_sdwa v64, v40, v16 dst_sel:DWORD dst_unused:UNUSED_PAD src0_sel:WORD_1 src1_sel:DWORD
	v_mul_f16_sdwa v71, v39, v55 dst_sel:DWORD dst_unused:UNUSED_PAD src0_sel:WORD_1 src1_sel:DWORD
	v_add_f16_e32 v72, v32, v67
	v_add_f16_e32 v73, v67, v68
	;; [unrolled: 1-line block ×4, first 2 shown]
	v_fmac_f16_e32 v10, v35, v18
	v_mul_f16_sdwa v18, v41, v56 dst_sel:DWORD dst_unused:UNUSED_PAD src0_sel:WORD_1 src1_sel:DWORD
	v_mul_f16_sdwa v76, v41, v14 dst_sel:DWORD dst_unused:UNUSED_PAD src0_sel:WORD_1 src1_sel:DWORD
	v_fma_f16 v17, v35, v52, -v17
	v_mul_f16_sdwa v52, v57, v42 dst_sel:DWORD dst_unused:UNUSED_PAD src0_sel:DWORD src1_sel:WORD_1
	v_mul_f16_sdwa v35, v11, v42 dst_sel:DWORD dst_unused:UNUSED_PAD src0_sel:DWORD src1_sel:WORD_1
	v_sub_f16_e32 v67, v67, v68
	v_sub_f16_e32 v49, v49, v50
	v_fma_f16 v37, v36, v53, -v37
	v_fmac_f16_e32 v38, v36, v15
	v_fmac_f16_e32 v51, v40, v16
	v_fma_f16 v15, v39, v55, -v70
	v_fma_f16 v16, v40, v54, -v64
	v_fmac_f16_e32 v71, v39, v13
	v_add_f16_e32 v13, v72, v68
	v_fmac_f16_e32 v32, -0.5, v73
	v_fmac_f16_e32 v60, -0.5, v74
	v_add_f16_e32 v36, v75, v50
	v_fmac_f16_e32 v18, v41, v14
	v_fma_f16 v14, v41, v56, -v76
	v_fmac_f16_e32 v52, v11, v42
	v_mul_f16_sdwa v11, v58, v43 dst_sel:DWORD dst_unused:UNUSED_PAD src0_sel:DWORD src1_sel:WORD_1
	v_mul_f16_sdwa v39, v9, v43 dst_sel:DWORD dst_unused:UNUSED_PAD src0_sel:DWORD src1_sel:WORD_1
	;; [unrolled: 1-line block ×6, first 2 shown]
	v_fma_f16 v35, v57, v42, -v35
	v_mul_f16_sdwa v42, v23, v45 dst_sel:DWORD dst_unused:UNUSED_PAD src0_sel:DWORD src1_sel:WORD_1
	v_mul_f16_sdwa v50, v1, v45 dst_sel:DWORD dst_unused:UNUSED_PAD src0_sel:DWORD src1_sel:WORD_1
	v_fmamk_f16 v56, v49, 0xbaee, v32
	v_fmac_f16_e32 v32, 0x3aee, v49
	v_fmamk_f16 v49, v67, 0x3aee, v60
	v_pack_b32_f16 v13, v13, v36
	v_add_f16_e32 v36, v63, v15
	v_add_f16_e32 v68, v31, v10
	;; [unrolled: 1-line block ×4, first 2 shown]
	v_fmac_f16_e32 v11, v9, v43
	v_fmac_f16_e32 v40, v12, v44
	v_fma_f16 v9, v58, v43, -v39
	v_fma_f16 v12, v59, v44, -v41
	v_fmac_f16_e32 v53, v21, v46
	v_fma_f16 v21, v26, v46, -v54
	v_add_f16_e32 v26, v18, v52
	v_add_f16_e32 v41, v61, v14
	;; [unrolled: 1-line block ×3, first 2 shown]
	v_fmac_f16_e32 v60, 0xbaee, v67
	v_add_f16_e32 v57, v71, v51
	v_add_f16_e32 v67, v15, v16
	v_fmac_f16_e32 v42, v1, v45
	v_fma_f16 v1, v23, v45, -v50
	v_sub_f16_e32 v64, v71, v51
	v_add_f16_e32 v71, v62, v17
	v_sub_f16_e32 v39, v14, v35
	v_add_f16_e32 v14, v14, v35
	v_sub_f16_e32 v15, v15, v16
	v_sub_f16_e32 v10, v10, v38
	;; [unrolled: 1-line block ×3, first 2 shown]
	v_add_f16_e32 v23, v6, v18
	v_add_f16_e32 v16, v36, v16
	;; [unrolled: 1-line block ×3, first 2 shown]
	v_fmac_f16_e32 v31, -0.5, v70
	v_fmac_f16_e32 v62, -0.5, v72
	v_pack_b32_f16 v38, v56, v49
	v_fmac_f16_e32 v6, -0.5, v26
	v_add_f16_e32 v26, v41, v35
	v_add_f16_e32 v35, v11, v40
	v_sub_f16_e32 v41, v9, v12
	v_add_f16_e32 v44, v65, v9
	v_add_f16_e32 v9, v9, v12
	;; [unrolled: 1-line block ×3, first 2 shown]
	v_fmac_f16_e32 v63, -0.5, v67
	v_fma_f16 v5, -0.5, v57, v5
	v_add_f16_e32 v46, v42, v53
	v_add_f16_e32 v51, v1, v21
	v_sub_f16_e32 v18, v18, v52
	v_add_f16_e32 v37, v71, v37
	v_pack_b32_f16 v32, v32, v60
	v_fmac_f16_e32 v61, -0.5, v14
	v_add_f16_e32 v14, v30, v11
	v_sub_f16_e32 v11, v11, v40
	ds_write2_b32 v25, v13, v38 offset1:160
	v_fmamk_f16 v13, v17, 0xbaee, v31
	v_fmac_f16_e32 v31, 0x3aee, v17
	v_fmamk_f16 v17, v10, 0x3aee, v62
	v_fmac_f16_e32 v62, 0xbaee, v10
	v_fmac_f16_e32 v30, -0.5, v35
	v_fmac_f16_e32 v65, -0.5, v9
	v_add_f16_e32 v23, v23, v52
	v_add_f16_e32 v45, v22, v42
	v_sub_f16_e32 v49, v1, v21
	v_add_f16_e32 v50, v24, v1
	v_sub_f16_e32 v42, v42, v53
	v_fmamk_f16 v52, v15, 0xbaee, v5
	v_fmac_f16_e32 v5, 0x3aee, v15
	v_fmamk_f16 v15, v64, 0x3aee, v63
	v_fmac_f16_e32 v63, 0xbaee, v64
	v_fmac_f16_e32 v22, -0.5, v46
	v_fmac_f16_e32 v24, -0.5, v51
	ds_write_b32 v25, v32 offset:1280
	v_pack_b32_f16 v10, v36, v37
	v_fmamk_f16 v32, v39, 0xbaee, v6
	v_fmamk_f16 v36, v18, 0x3aee, v61
	v_fmac_f16_e32 v6, 0x3aee, v39
	v_fmac_f16_e32 v61, 0xbaee, v18
	v_add_f16_e32 v14, v14, v40
	v_add_f16_e32 v12, v44, v12
	v_pack_b32_f16 v13, v13, v17
	v_pack_b32_f16 v17, v31, v62
	v_fmamk_f16 v18, v41, 0xbaee, v30
	v_fmamk_f16 v31, v11, 0x3aee, v65
	v_fmac_f16_e32 v30, 0x3aee, v41
	v_fmac_f16_e32 v65, 0xbaee, v11
	v_pack_b32_f16 v16, v43, v16
	v_add_f16_e32 v1, v45, v53
	v_add_f16_e32 v21, v50, v21
	v_pack_b32_f16 v9, v23, v26
	v_pack_b32_f16 v15, v52, v15
	;; [unrolled: 1-line block ×3, first 2 shown]
	v_fmamk_f16 v23, v49, 0xbaee, v22
	v_fmac_f16_e32 v22, 0x3aee, v49
	v_fmamk_f16 v26, v42, 0x3aee, v24
	v_fmac_f16_e32 v24, 0xbaee, v42
	v_pack_b32_f16 v11, v32, v36
	v_pack_b32_f16 v6, v6, v61
	;; [unrolled: 1-line block ×3, first 2 shown]
	ds_write2_b32 v47, v10, v13 offset1:160
	ds_write_b32 v47, v17 offset:1280
	ds_write2_b32 v66, v16, v15 offset0:52 offset1:212
	v_pack_b32_f16 v10, v18, v31
	v_pack_b32_f16 v13, v30, v65
	ds_write_b32 v25, v5 offset:3280
	ds_write2_b32 v34, v9, v11 offset1:160
	ds_write_b32 v34, v6 offset:1280
	ds_write2_b32 v69, v12, v10 offset0:64 offset1:224
	ds_write_b32 v48, v13 offset:5120
	s_and_saveexec_b32 s1, s0
	s_cbranch_execz .LBB0_19
; %bb.18:
	v_lshl_add_u32 v5, v33, 2, 0
	v_perm_b32 v6, v21, v1, 0x5040100
	v_perm_b32 v9, v26, v23, 0x5040100
	v_perm_b32 v11, v24, v22, 0x5040100
	v_add_nc_u32_e32 v10, 0xe00, v5
	ds_write2_b32 v10, v6, v9 offset0:64 offset1:224
	ds_write_b32 v5, v11 offset:5120
.LBB0_19:
	s_or_b32 exec_lo, exec_lo, s1
	v_add_nc_u32_e32 v5, 0x600, v25
	v_add_nc_u32_e32 v6, 0xc00, v25
	s_waitcnt lgkmcnt(0)
	s_barrier
	buffer_gl0_inv
	ds_read2_b32 v[15:16], v5 offset0:96 offset1:186
	ds_read2_b32 v[9:10], v6 offset0:72 offset1:192
	v_add_nc_u32_e32 v5, 0x1000, v25
	v_add_nc_u32_e32 v30, 0x200, v20
	;; [unrolled: 1-line block ×4, first 2 shown]
	ds_read_b32 v32, v19
	ds_read2_b32 v[17:18], v5 offset0:26 offset1:116
	ds_read2_b32 v[5:6], v30 offset0:52 offset1:142
	;; [unrolled: 1-line block ×4, first 2 shown]
	ds_read_b32 v33, v25
	ds_read_b32 v31, v20 offset:1440
	s_and_saveexec_b32 s1, s0
	s_cbranch_execz .LBB0_21
; %bb.20:
	ds_read_b32 v1, v20 offset:1800
	ds_read_b32 v23, v25 offset:3720
	;; [unrolled: 1-line block ×3, first 2 shown]
	s_waitcnt lgkmcnt(2)
	v_lshrrev_b32_e32 v21, 16, v1
	s_waitcnt lgkmcnt(1)
	v_lshrrev_b32_e32 v26, 16, v23
	;; [unrolled: 2-line block ×3, first 2 shown]
.LBB0_21:
	s_or_b32 exec_lo, exec_lo, s1
	global_load_dwordx2 v[34:35], v[7:8], off offset:1880
	v_lshlrev_b32_e32 v7, 1, v4
	v_mov_b32_e32 v8, 0
	s_waitcnt lgkmcnt(8)
	v_lshrrev_b32_e32 v53, 16, v15
	s_waitcnt lgkmcnt(7)
	v_lshrrev_b32_e32 v55, 16, v10
	;; [unrolled: 2-line block ×3, first 2 shown]
	v_lshrrev_b32_e32 v54, 16, v16
	v_lshlrev_b64 v[36:37], 2, v[7:8]
	v_lshl_add_u32 v7, v0, 1, 0x168
	v_lshrrev_b32_e32 v50, 16, v18
	s_waitcnt lgkmcnt(3)
	v_lshrrev_b32_e32 v51, 16, v13
	v_lshrrev_b32_e32 v42, 16, v32
	s_waitcnt lgkmcnt(2)
	v_lshrrev_b32_e32 v45, 16, v11
	v_lshlrev_b64 v[38:39], 2, v[7:8]
	v_lshlrev_b32_e32 v7, 1, v28
	v_add_co_u32 v36, s1, s8, v36
	v_add_co_ci_u32_e64 v37, s1, s9, v37, s1
	v_lshlrev_b64 v[40:41], 2, v[7:8]
	v_add_co_u32 v38, s1, s8, v38
	v_add_co_ci_u32_e64 v39, s1, s9, v39, s1
	v_lshlrev_b32_e32 v7, 1, v29
	v_add_co_u32 v40, s1, s8, v40
	v_add_co_ci_u32_e64 v41, s1, s9, v41, s1
	s_clause 0x1
	global_load_dwordx2 v[36:37], v[36:37], off offset:1880
	global_load_dwordx2 v[38:39], v[38:39], off offset:1880
	v_lshrrev_b32_e32 v49, 16, v14
	global_load_dwordx2 v[28:29], v[40:41], off offset:1880
	v_lshlrev_b64 v[40:41], 2, v[7:8]
	s_waitcnt lgkmcnt(1)
	v_lshrrev_b32_e32 v7, 16, v33
	v_lshrrev_b32_e32 v43, 16, v5
	;; [unrolled: 1-line block ×5, first 2 shown]
	v_add_co_u32 v40, s1, s8, v40
	v_add_co_ci_u32_e64 v41, s1, s9, v41, s1
	s_waitcnt lgkmcnt(0)
	v_lshrrev_b32_e32 v46, 16, v31
	v_add_nc_u32_e32 v56, 0x800, v20
	v_add_nc_u32_e32 v57, 0x1000, v20
	global_load_dwordx2 v[40:41], v[40:41], off offset:1880
	s_waitcnt vmcnt(0)
	s_barrier
	buffer_gl0_inv
	v_mul_f16_sdwa v58, v34, v53 dst_sel:DWORD dst_unused:UNUSED_PAD src0_sel:WORD_1 src1_sel:DWORD
	v_mul_f16_sdwa v59, v34, v15 dst_sel:DWORD dst_unused:UNUSED_PAD src0_sel:WORD_1 src1_sel:DWORD
	;; [unrolled: 1-line block ×4, first 2 shown]
	v_fmac_f16_e32 v58, v34, v15
	v_fma_f16 v15, v34, v53, -v59
	v_fmac_f16_e32 v60, v35, v10
	v_fma_f16 v10, v35, v55, -v61
	v_add_f16_e32 v34, v33, v58
	v_add_f16_e32 v55, v7, v15
	;; [unrolled: 1-line block ×3, first 2 shown]
	v_sub_f16_e32 v53, v15, v10
	v_add_f16_e32 v15, v15, v10
	v_sub_f16_e32 v58, v58, v60
	v_add_f16_e32 v34, v34, v60
	v_fmac_f16_e32 v33, -0.5, v35
	v_add_f16_e32 v10, v55, v10
	v_fmac_f16_e32 v7, -0.5, v15
	v_fmamk_f16 v60, v53, 0xbaee, v33
	v_fmac_f16_e32 v33, 0x3aee, v53
	v_fmamk_f16 v53, v58, 0x3aee, v7
	v_fmac_f16_e32 v7, 0xbaee, v58
	v_pack_b32_f16 v10, v34, v10
	v_mul_f16_sdwa v15, v36, v54 dst_sel:DWORD dst_unused:UNUSED_PAD src0_sel:WORD_1 src1_sel:DWORD
	v_mul_f16_sdwa v35, v36, v16 dst_sel:DWORD dst_unused:UNUSED_PAD src0_sel:WORD_1 src1_sel:DWORD
	;; [unrolled: 1-line block ×5, first 2 shown]
	v_fmac_f16_e32 v15, v36, v16
	v_fma_f16 v16, v36, v54, -v35
	v_fmac_f16_e32 v55, v37, v17
	v_fma_f16 v17, v37, v52, -v59
	v_mul_f16_sdwa v35, v38, v13 dst_sel:DWORD dst_unused:UNUSED_PAD src0_sel:WORD_1 src1_sel:DWORD
	v_mul_f16_sdwa v36, v39, v50 dst_sel:DWORD dst_unused:UNUSED_PAD src0_sel:WORD_1 src1_sel:DWORD
	;; [unrolled: 1-line block ×3, first 2 shown]
	ds_write_b32 v25, v10
	v_pack_b32_f16 v10, v60, v53
	v_pack_b32_f16 v7, v33, v7
	v_fmac_f16_e32 v34, v38, v13
	v_fma_f16 v13, v38, v51, -v35
	v_fmac_f16_e32 v36, v39, v18
	v_fma_f16 v18, v39, v50, -v37
	v_mul_f16_sdwa v33, v28, v49 dst_sel:DWORD dst_unused:UNUSED_PAD src0_sel:WORD_1 src1_sel:DWORD
	v_mul_f16_sdwa v35, v28, v14 dst_sel:DWORD dst_unused:UNUSED_PAD src0_sel:WORD_1 src1_sel:DWORD
	v_mul_f16_sdwa v37, v45, v29 dst_sel:DWORD dst_unused:UNUSED_PAD src0_sel:DWORD src1_sel:WORD_1
	v_mul_f16_sdwa v38, v11, v29 dst_sel:DWORD dst_unused:UNUSED_PAD src0_sel:DWORD src1_sel:WORD_1
	v_add_f16_e32 v39, v32, v15
	v_sub_f16_e32 v51, v16, v17
	v_add_f16_e32 v52, v42, v16
	v_add_f16_e32 v16, v16, v17
	;; [unrolled: 1-line block ×3, first 2 shown]
	v_sub_f16_e32 v15, v15, v55
	ds_write_b32 v25, v10 offset:1920
	ds_write_b32 v25, v7 offset:3840
	v_fmac_f16_e32 v33, v28, v14
	v_fma_f16 v7, v28, v49, -v35
	v_fmac_f16_e32 v37, v11, v29
	v_fma_f16 v10, v45, v29, -v38
	v_mul_f16_sdwa v11, v47, v40 dst_sel:DWORD dst_unused:UNUSED_PAD src0_sel:DWORD src1_sel:WORD_1
	v_mul_f16_sdwa v14, v9, v40 dst_sel:DWORD dst_unused:UNUSED_PAD src0_sel:DWORD src1_sel:WORD_1
	;; [unrolled: 1-line block ×4, first 2 shown]
	v_add_f16_e32 v35, v39, v55
	v_fmac_f16_e32 v42, -0.5, v16
	v_add_f16_e32 v16, v5, v34
	v_add_f16_e32 v38, v34, v36
	v_sub_f16_e32 v39, v13, v18
	v_add_f16_e32 v45, v43, v13
	v_add_f16_e32 v13, v13, v18
	v_fmac_f16_e32 v32, -0.5, v50
	v_add_f16_e32 v17, v52, v17
	v_sub_f16_e32 v34, v34, v36
	v_fmac_f16_e32 v11, v9, v40
	v_fma_f16 v9, v47, v40, -v14
	v_fmac_f16_e32 v28, v12, v41
	v_fma_f16 v12, v48, v41, -v29
	v_fmamk_f16 v29, v15, 0x3aee, v42
	v_fmac_f16_e32 v42, 0xbaee, v15
	v_add_f16_e32 v15, v16, v36
	v_fma_f16 v5, -0.5, v38, v5
	v_add_f16_e32 v16, v45, v18
	v_fmac_f16_e32 v43, -0.5, v13
	v_add_f16_e32 v13, v6, v33
	v_add_f16_e32 v18, v33, v37
	v_sub_f16_e32 v36, v7, v10
	v_add_f16_e32 v38, v44, v7
	v_add_f16_e32 v7, v7, v10
	v_fmamk_f16 v14, v51, 0xbaee, v32
	v_sub_f16_e32 v33, v33, v37
	v_pack_b32_f16 v17, v35, v17
	v_fmamk_f16 v35, v39, 0xbaee, v5
	v_fmac_f16_e32 v5, 0x3aee, v39
	v_fmamk_f16 v39, v34, 0x3aee, v43
	v_fmac_f16_e32 v43, 0xbaee, v34
	v_add_f16_e32 v13, v13, v37
	v_fmac_f16_e32 v6, -0.5, v18
	v_add_f16_e32 v18, v11, v28
	v_sub_f16_e32 v34, v9, v12
	v_add_f16_e32 v37, v46, v9
	v_add_f16_e32 v9, v9, v12
	v_fmac_f16_e32 v32, 0x3aee, v51
	v_add_f16_e32 v10, v38, v10
	v_fmac_f16_e32 v44, -0.5, v7
	v_add_f16_e32 v7, v31, v11
	v_sub_f16_e32 v11, v11, v28
	v_pack_b32_f16 v14, v14, v29
	v_fmac_f16_e32 v31, -0.5, v18
	v_fmac_f16_e32 v46, -0.5, v9
	ds_write_b32 v19, v17
	v_pack_b32_f16 v17, v32, v42
	v_pack_b32_f16 v15, v15, v16
	v_fmamk_f16 v16, v36, 0xbaee, v6
	v_fmamk_f16 v29, v33, 0x3aee, v44
	v_pack_b32_f16 v10, v13, v10
	v_fmac_f16_e32 v6, 0x3aee, v36
	v_fmac_f16_e32 v44, 0xbaee, v33
	v_add_f16_e32 v7, v7, v28
	v_add_f16_e32 v12, v37, v12
	ds_write_b32 v19, v14 offset:1920
	ds_write_b32 v19, v17 offset:3840
	v_fmamk_f16 v13, v34, 0xbaee, v31
	v_fmamk_f16 v14, v11, 0x3aee, v46
	v_fmac_f16_e32 v31, 0x3aee, v34
	v_fmac_f16_e32 v46, 0xbaee, v11
	v_pack_b32_f16 v9, v35, v39
	ds_write2_b32 v30, v15, v10 offset0:52 offset1:142
	v_pack_b32_f16 v10, v16, v29
	v_pack_b32_f16 v5, v5, v43
	;; [unrolled: 1-line block ×6, first 2 shown]
	ds_write2_b32 v56, v9, v10 offset0:148 offset1:238
	ds_write2_b32 v57, v5, v6 offset0:116 offset1:206
	ds_write_b32 v20, v7 offset:1440
	ds_write_b32 v20, v11 offset:3360
	;; [unrolled: 1-line block ×3, first 2 shown]
	s_and_saveexec_b32 s1, s0
	s_cbranch_execz .LBB0_23
; %bb.22:
	v_subrev_nc_u32_e32 v5, 30, v0
	v_cndmask_b32_e64 v5, v5, v27, s0
	v_lshlrev_b32_e32 v7, 1, v5
	v_lshlrev_b64 v[5:6], 2, v[7:8]
	v_add_co_u32 v5, s0, s8, v5
	v_add_co_ci_u32_e64 v6, s0, s9, v6, s0
	global_load_dwordx2 v[5:6], v[5:6], off offset:1880
	s_waitcnt vmcnt(0)
	v_mul_f16_sdwa v7, v22, v6 dst_sel:DWORD dst_unused:UNUSED_PAD src0_sel:DWORD src1_sel:WORD_1
	v_mul_f16_sdwa v8, v23, v5 dst_sel:DWORD dst_unused:UNUSED_PAD src0_sel:DWORD src1_sel:WORD_1
	v_mul_f16_sdwa v9, v26, v5 dst_sel:DWORD dst_unused:UNUSED_PAD src0_sel:DWORD src1_sel:WORD_1
	v_mul_f16_sdwa v10, v24, v6 dst_sel:DWORD dst_unused:UNUSED_PAD src0_sel:DWORD src1_sel:WORD_1
	v_fma_f16 v7, v24, v6, -v7
	v_fma_f16 v8, v26, v5, -v8
	v_fmac_f16_e32 v9, v23, v5
	v_fmac_f16_e32 v10, v22, v6
	v_add_f16_e32 v5, v8, v7
	v_add_f16_e32 v6, v21, v8
	v_add_f16_e32 v11, v9, v10
	v_add_f16_e32 v12, v1, v9
	v_sub_f16_e32 v9, v9, v10
	v_fmac_f16_e32 v21, -0.5, v5
	v_sub_f16_e32 v5, v8, v7
	v_fmac_f16_e32 v1, -0.5, v11
	v_add_f16_e32 v6, v6, v7
	v_add_f16_e32 v7, v12, v10
	v_fmamk_f16 v8, v9, 0xbaee, v21
	v_fmac_f16_e32 v21, 0x3aee, v9
	v_fmamk_f16 v9, v5, 0x3aee, v1
	v_fmac_f16_e32 v1, 0xbaee, v5
	v_pack_b32_f16 v5, v7, v6
	v_pack_b32_f16 v6, v9, v8
	;; [unrolled: 1-line block ×3, first 2 shown]
	ds_write_b32 v25, v5 offset:1800
	ds_write_b32 v25, v1 offset:3720
	;; [unrolled: 1-line block ×3, first 2 shown]
.LBB0_23:
	s_or_b32 exec_lo, exec_lo, s1
	s_waitcnt lgkmcnt(0)
	s_barrier
	buffer_gl0_inv
	ds_read_b32 v5, v25
	v_lshlrev_b32_e32 v1, 2, v0
	s_add_u32 s1, s8, 0x1658
	s_addc_u32 s4, s9, 0
	s_mov_b32 s5, exec_lo
                                        ; implicit-def: $vgpr11
                                        ; implicit-def: $vgpr10
                                        ; implicit-def: $vgpr9
                                        ; implicit-def: $vgpr6_vgpr7
	v_sub_nc_u32_e32 v8, 0, v1
	v_cmpx_ne_u32_e32 0, v0
	s_xor_b32 s5, exec_lo, s5
	s_cbranch_execz .LBB0_25
; %bb.24:
	v_mov_b32_e32 v1, 0
	v_lshlrev_b64 v[6:7], 2, v[0:1]
	v_add_co_u32 v6, s0, s1, v6
	v_add_co_ci_u32_e64 v7, s0, s4, v7, s0
	global_load_dword v6, v[6:7], off
	ds_read_b32 v7, v8 offset:5760
	s_waitcnt lgkmcnt(0)
	v_pk_add_f16 v9, v5, v7 neg_lo:[0,1] neg_hi:[0,1]
	v_pk_add_f16 v5, v7, v5
	v_bfi_b32 v7, 0xffff, v9, v5
	v_bfi_b32 v5, 0xffff, v5, v9
	v_pk_mul_f16 v7, v7, 0.5 op_sel_hi:[1,0]
	v_pk_mul_f16 v10, v5, 0.5 op_sel_hi:[1,0]
	s_waitcnt vmcnt(0)
	v_pk_mul_f16 v9, v6, v7 op_sel:[1,0]
	v_pk_mul_f16 v6, v6, v7 op_sel_hi:[0,1]
	v_pk_fma_f16 v5, v5, 0.5, v9 op_sel_hi:[1,0,1]
	v_sub_f16_e32 v7, v10, v9
	v_sub_f16_sdwa v9, v9, v10 dst_sel:DWORD dst_unused:UNUSED_PAD src0_sel:WORD_1 src1_sel:WORD_1
	v_pk_add_f16 v11, v5, v6 op_sel:[0,1] op_sel_hi:[1,0]
	v_pk_add_f16 v5, v5, v6 op_sel:[0,1] op_sel_hi:[1,0] neg_lo:[0,1] neg_hi:[0,1]
	v_sub_f16_sdwa v10, v7, v6 dst_sel:DWORD dst_unused:UNUSED_PAD src0_sel:DWORD src1_sel:WORD_1
	v_sub_f16_e32 v9, v9, v6
	v_mov_b32_e32 v7, v1
	v_mov_b32_e32 v6, v0
	v_bfi_b32 v11, 0xffff, v11, v5
                                        ; implicit-def: $vgpr5
.LBB0_25:
	s_andn2_saveexec_b32 s0, s5
	s_cbranch_execz .LBB0_27
; %bb.26:
	v_mov_b32_e32 v9, 0
	s_waitcnt lgkmcnt(0)
	v_alignbit_b32 v6, s0, v5, 16
	v_sub_f16_sdwa v10, v5, v5 dst_sel:DWORD dst_unused:UNUSED_PAD src0_sel:DWORD src1_sel:WORD_1
	ds_read_u16 v1, v9 offset:2882
	v_pk_add_f16 v11, v6, v5
	v_mov_b32_e32 v6, 0
	v_mov_b32_e32 v7, 0
	v_pack_b32_f16 v11, v11, 0
	s_waitcnt lgkmcnt(0)
	v_xor_b32_e32 v1, 0x8000, v1
	ds_write_b16 v9, v1 offset:2882
.LBB0_27:
	s_or_b32 exec_lo, exec_lo, s0
	s_waitcnt lgkmcnt(0)
	v_mov_b32_e32 v5, 0
	v_lshlrev_b64 v[4:5], 2, v[4:5]
	v_add_co_u32 v4, s0, s1, v4
	v_add_co_ci_u32_e64 v5, s0, s4, v5, s0
	global_load_dword v1, v[4:5], off
	v_lshlrev_b64 v[4:5], 2, v[6:7]
	v_add_co_u32 v6, s0, s1, v4
	v_add_co_ci_u32_e64 v7, s0, s4, v5, s0
	s_clause 0x3
	global_load_dword v12, v[6:7], off offset:720
	global_load_dword v13, v[6:7], off offset:1080
	;; [unrolled: 1-line block ×4, first 2 shown]
	v_add_co_u32 v6, s0, 0x800, v6
	v_add_co_ci_u32_e64 v7, s0, 0, v7, s0
	ds_write_b16 v8, v9 offset:5762
	ds_write_b32 v25, v11
	ds_write_b16 v8, v10 offset:5760
	ds_read_b32 v9, v19
	ds_read_b32 v10, v8 offset:5400
	s_clause 0x1
	global_load_dword v11, v[6:7], off offset:112
	global_load_dword v6, v[6:7], off offset:472
	s_waitcnt lgkmcnt(0)
	v_pk_add_f16 v16, v9, v10 neg_lo:[0,1] neg_hi:[0,1]
	v_pk_add_f16 v9, v9, v10
	v_bfi_b32 v10, 0xffff, v16, v9
	v_bfi_b32 v9, 0xffff, v9, v16
	v_pk_mul_f16 v10, v10, 0.5 op_sel_hi:[1,0]
	v_pk_mul_f16 v9, v9, 0.5 op_sel_hi:[1,0]
	s_waitcnt vmcnt(6)
	v_pk_fma_f16 v7, v1, v10, v9 op_sel:[1,0,0]
	v_pk_mul_f16 v16, v1, v10 op_sel_hi:[0,1]
	v_pk_fma_f16 v17, v1, v10, v9 op_sel:[1,0,0] neg_lo:[1,0,0] neg_hi:[1,0,0]
	v_pk_fma_f16 v1, v1, v10, v9 op_sel:[1,0,0] neg_lo:[0,0,1] neg_hi:[0,0,1]
	v_pk_add_f16 v9, v7, v16 op_sel:[0,1] op_sel_hi:[1,0]
	v_pk_add_f16 v7, v7, v16 op_sel:[0,1] op_sel_hi:[1,0] neg_lo:[0,1] neg_hi:[0,1]
	v_pk_add_f16 v10, v17, v16 op_sel:[0,1] op_sel_hi:[1,0] neg_lo:[0,1] neg_hi:[0,1]
	v_pk_add_f16 v1, v1, v16 op_sel:[0,1] op_sel_hi:[1,0] neg_lo:[0,1] neg_hi:[0,1]
	v_bfi_b32 v7, 0xffff, v9, v7
	v_bfi_b32 v1, 0xffff, v10, v1
	ds_write_b32 v19, v7
	ds_write_b32 v8, v1 offset:5400
	ds_read_b32 v1, v20 offset:720
	ds_read_b32 v7, v8 offset:5040
	s_waitcnt lgkmcnt(0)
	v_pk_add_f16 v9, v1, v7 neg_lo:[0,1] neg_hi:[0,1]
	v_pk_add_f16 v1, v1, v7
	v_bfi_b32 v7, 0xffff, v9, v1
	v_bfi_b32 v1, 0xffff, v1, v9
	v_pk_mul_f16 v7, v7, 0.5 op_sel_hi:[1,0]
	v_pk_mul_f16 v10, v1, 0.5 op_sel_hi:[1,0]
	s_waitcnt vmcnt(5)
	v_pk_mul_f16 v9, v12, v7 op_sel:[1,0]
	v_pk_mul_f16 v7, v12, v7 op_sel_hi:[0,1]
	v_pk_fma_f16 v1, v1, 0.5, v9 op_sel_hi:[1,0,1]
	v_sub_f16_sdwa v12, v9, v10 dst_sel:DWORD dst_unused:UNUSED_PAD src0_sel:WORD_1 src1_sel:WORD_1
	v_sub_f16_e32 v9, v10, v9
	v_pk_add_f16 v16, v1, v7 op_sel:[0,1] op_sel_hi:[1,0]
	v_pk_add_f16 v1, v1, v7 op_sel:[0,1] op_sel_hi:[1,0] neg_lo:[0,1] neg_hi:[0,1]
	v_sub_f16_e32 v10, v12, v7
	v_sub_f16_sdwa v7, v9, v7 dst_sel:DWORD dst_unused:UNUSED_PAD src0_sel:DWORD src1_sel:WORD_1
	v_bfi_b32 v1, 0xffff, v16, v1
	ds_write_b16 v8, v10 offset:5042
	ds_write_b32 v20, v1 offset:720
	ds_write_b16 v8, v7 offset:5040
	ds_read_b32 v1, v20 offset:1080
	ds_read_b32 v7, v8 offset:4680
	s_waitcnt lgkmcnt(0)
	v_pk_add_f16 v9, v1, v7 neg_lo:[0,1] neg_hi:[0,1]
	v_pk_add_f16 v1, v1, v7
	v_bfi_b32 v7, 0xffff, v9, v1
	v_bfi_b32 v1, 0xffff, v1, v9
	v_pk_mul_f16 v7, v7, 0.5 op_sel_hi:[1,0]
	v_pk_mul_f16 v10, v1, 0.5 op_sel_hi:[1,0]
	s_waitcnt vmcnt(4)
	v_pk_mul_f16 v9, v13, v7 op_sel:[1,0]
	v_pk_mul_f16 v7, v13, v7 op_sel_hi:[0,1]
	v_pk_fma_f16 v1, v1, 0.5, v9 op_sel_hi:[1,0,1]
	v_sub_f16_sdwa v12, v9, v10 dst_sel:DWORD dst_unused:UNUSED_PAD src0_sel:WORD_1 src1_sel:WORD_1
	v_sub_f16_e32 v9, v10, v9
	v_pk_add_f16 v13, v1, v7 op_sel:[0,1] op_sel_hi:[1,0]
	v_pk_add_f16 v1, v1, v7 op_sel:[0,1] op_sel_hi:[1,0] neg_lo:[0,1] neg_hi:[0,1]
	v_sub_f16_e32 v10, v12, v7
	v_sub_f16_sdwa v7, v9, v7 dst_sel:DWORD dst_unused:UNUSED_PAD src0_sel:DWORD src1_sel:WORD_1
	v_bfi_b32 v1, 0xffff, v13, v1
	ds_write_b16 v8, v10 offset:4682
	ds_write_b32 v20, v1 offset:1080
	ds_write_b16 v8, v7 offset:4680
	ds_read_b32 v1, v20 offset:1440
	ds_read_b32 v7, v8 offset:4320
	s_waitcnt lgkmcnt(0)
	v_pk_add_f16 v9, v1, v7 neg_lo:[0,1] neg_hi:[0,1]
	v_pk_add_f16 v1, v1, v7
	v_bfi_b32 v7, 0xffff, v9, v1
	v_bfi_b32 v1, 0xffff, v1, v9
	v_pk_mul_f16 v7, v7, 0.5 op_sel_hi:[1,0]
	v_pk_mul_f16 v1, v1, 0.5 op_sel_hi:[1,0]
	s_waitcnt vmcnt(3)
	v_pk_mul_f16 v10, v14, v7 op_sel_hi:[0,1]
	v_pk_fma_f16 v9, v14, v7, v1 op_sel:[1,0,0]
	v_pk_fma_f16 v12, v14, v7, v1 op_sel:[1,0,0] neg_lo:[1,0,0] neg_hi:[1,0,0]
	v_pk_fma_f16 v1, v14, v7, v1 op_sel:[1,0,0] neg_lo:[0,0,1] neg_hi:[0,0,1]
	v_pk_add_f16 v7, v9, v10 op_sel:[0,1] op_sel_hi:[1,0]
	v_pk_add_f16 v9, v9, v10 op_sel:[0,1] op_sel_hi:[1,0] neg_lo:[0,1] neg_hi:[0,1]
	v_pk_add_f16 v12, v12, v10 op_sel:[0,1] op_sel_hi:[1,0] neg_lo:[0,1] neg_hi:[0,1]
	;; [unrolled: 1-line block ×3, first 2 shown]
	v_bfi_b32 v7, 0xffff, v7, v9
	v_bfi_b32 v1, 0xffff, v12, v1
	ds_write_b32 v20, v7 offset:1440
	ds_write_b32 v8, v1 offset:4320
	ds_read_b32 v1, v20 offset:1800
	ds_read_b32 v7, v8 offset:3960
	s_waitcnt lgkmcnt(0)
	v_pk_add_f16 v9, v1, v7 neg_lo:[0,1] neg_hi:[0,1]
	v_pk_add_f16 v1, v1, v7
	v_bfi_b32 v7, 0xffff, v9, v1
	v_bfi_b32 v1, 0xffff, v1, v9
	v_pk_mul_f16 v7, v7, 0.5 op_sel_hi:[1,0]
	v_pk_mul_f16 v10, v1, 0.5 op_sel_hi:[1,0]
	s_waitcnt vmcnt(2)
	v_pk_mul_f16 v9, v15, v7 op_sel:[1,0]
	v_pk_mul_f16 v7, v15, v7 op_sel_hi:[0,1]
	v_pk_fma_f16 v1, v1, 0.5, v9 op_sel_hi:[1,0,1]
	v_sub_f16_sdwa v12, v9, v10 dst_sel:DWORD dst_unused:UNUSED_PAD src0_sel:WORD_1 src1_sel:WORD_1
	v_sub_f16_e32 v9, v10, v9
	v_pk_add_f16 v13, v1, v7 op_sel:[0,1] op_sel_hi:[1,0]
	v_pk_add_f16 v1, v1, v7 op_sel:[0,1] op_sel_hi:[1,0] neg_lo:[0,1] neg_hi:[0,1]
	v_sub_f16_e32 v10, v12, v7
	v_sub_f16_sdwa v7, v9, v7 dst_sel:DWORD dst_unused:UNUSED_PAD src0_sel:DWORD src1_sel:WORD_1
	v_bfi_b32 v1, 0xffff, v13, v1
	ds_write_b16 v8, v10 offset:3962
	ds_write_b32 v20, v1 offset:1800
	ds_write_b16 v8, v7 offset:3960
	ds_read_b32 v1, v25 offset:2160
	ds_read_b32 v7, v8 offset:3600
	s_waitcnt lgkmcnt(0)
	v_pk_add_f16 v9, v1, v7 neg_lo:[0,1] neg_hi:[0,1]
	v_pk_add_f16 v1, v1, v7
	v_bfi_b32 v7, 0xffff, v9, v1
	v_bfi_b32 v1, 0xffff, v1, v9
	v_pk_mul_f16 v7, v7, 0.5 op_sel_hi:[1,0]
	v_pk_mul_f16 v10, v1, 0.5 op_sel_hi:[1,0]
	s_waitcnt vmcnt(1)
	v_pk_mul_f16 v9, v11, v7 op_sel:[1,0]
	v_pk_mul_f16 v7, v11, v7 op_sel_hi:[0,1]
	v_pk_fma_f16 v1, v1, 0.5, v9 op_sel_hi:[1,0,1]
	v_sub_f16_sdwa v11, v9, v10 dst_sel:DWORD dst_unused:UNUSED_PAD src0_sel:WORD_1 src1_sel:WORD_1
	v_sub_f16_e32 v9, v10, v9
	v_pk_add_f16 v12, v1, v7 op_sel:[0,1] op_sel_hi:[1,0]
	v_pk_add_f16 v1, v1, v7 op_sel:[0,1] op_sel_hi:[1,0] neg_lo:[0,1] neg_hi:[0,1]
	v_sub_f16_e32 v10, v11, v7
	v_sub_f16_sdwa v7, v9, v7 dst_sel:DWORD dst_unused:UNUSED_PAD src0_sel:DWORD src1_sel:WORD_1
	v_bfi_b32 v1, 0xffff, v12, v1
	ds_write_b16 v8, v10 offset:3602
	ds_write_b32 v25, v1 offset:2160
	ds_write_b16 v8, v7 offset:3600
	ds_read_b32 v1, v25 offset:2520
	ds_read_b32 v7, v8 offset:3240
	s_waitcnt lgkmcnt(0)
	v_pk_add_f16 v9, v1, v7 neg_lo:[0,1] neg_hi:[0,1]
	v_pk_add_f16 v1, v1, v7
	v_bfi_b32 v7, 0xffff, v9, v1
	v_bfi_b32 v1, 0xffff, v1, v9
	v_pk_mul_f16 v7, v7, 0.5 op_sel_hi:[1,0]
	v_pk_mul_f16 v1, v1, 0.5 op_sel_hi:[1,0]
	s_waitcnt vmcnt(0)
	v_pk_mul_f16 v10, v6, v7 op_sel_hi:[0,1]
	v_pk_fma_f16 v9, v6, v7, v1 op_sel:[1,0,0]
	v_pk_fma_f16 v11, v6, v7, v1 op_sel:[1,0,0] neg_lo:[1,0,0] neg_hi:[1,0,0]
	v_pk_fma_f16 v1, v6, v7, v1 op_sel:[1,0,0] neg_lo:[0,0,1] neg_hi:[0,0,1]
	v_pk_add_f16 v6, v9, v10 op_sel:[0,1] op_sel_hi:[1,0]
	v_pk_add_f16 v7, v9, v10 op_sel:[0,1] op_sel_hi:[1,0] neg_lo:[0,1] neg_hi:[0,1]
	v_pk_add_f16 v9, v11, v10 op_sel:[0,1] op_sel_hi:[1,0] neg_lo:[0,1] neg_hi:[0,1]
	;; [unrolled: 1-line block ×3, first 2 shown]
	v_bfi_b32 v6, 0xffff, v6, v7
	v_bfi_b32 v1, 0xffff, v9, v1
	ds_write_b32 v25, v6 offset:2520
	ds_write_b32 v8, v1 offset:3240
	s_waitcnt lgkmcnt(0)
	s_barrier
	buffer_gl0_inv
	s_and_saveexec_b32 s0, vcc_lo
	s_cbranch_execz .LBB0_30
; %bb.28:
	ds_read2_b32 v[6:7], v25 offset1:90
	v_add_nc_u32_e32 v8, 0x200, v25
	v_add_co_u32 v1, vcc_lo, s2, v2
	v_add_nc_u32_e32 v10, 0x400, v25
	v_add_nc_u32_e32 v12, 0x800, v25
	v_add_co_ci_u32_e32 v2, vcc_lo, s3, v3, vcc_lo
	ds_read2_b32 v[8:9], v8 offset0:52 offset1:142
	ds_read2_b32 v[10:11], v10 offset0:104 offset1:194
	;; [unrolled: 1-line block ×3, first 2 shown]
	v_add_co_u32 v3, vcc_lo, v1, v4
	v_add_nc_u32_e32 v14, 0xa00, v25
	v_add_co_ci_u32_e32 v4, vcc_lo, v2, v5, vcc_lo
	v_add_nc_u32_e32 v5, 0xc00, v25
	v_add_nc_u32_e32 v16, 0x1000, v25
	;; [unrolled: 1-line block ×3, first 2 shown]
	ds_read2_b32 v[14:15], v14 offset0:80 offset1:170
	v_add_co_u32 v20, vcc_lo, 0x800, v3
	s_waitcnt lgkmcnt(4)
	global_store_dword v[3:4], v6, off
	global_store_dword v[3:4], v7, off offset:360
	ds_read2_b32 v[5:6], v5 offset0:132 offset1:222
	ds_read2_b32 v[16:17], v16 offset0:56 offset1:146
	;; [unrolled: 1-line block ×3, first 2 shown]
	v_add_co_ci_u32_e32 v21, vcc_lo, 0, v4, vcc_lo
	s_waitcnt lgkmcnt(6)
	global_store_dword v[3:4], v8, off offset:720
	global_store_dword v[3:4], v9, off offset:1080
	s_waitcnt lgkmcnt(5)
	global_store_dword v[3:4], v10, off offset:1440
	global_store_dword v[3:4], v11, off offset:1800
	s_waitcnt lgkmcnt(4)
	global_store_dword v[20:21], v12, off offset:112
	global_store_dword v[20:21], v13, off offset:472
	s_waitcnt lgkmcnt(3)
	global_store_dword v[20:21], v14, off offset:832
	v_add_co_u32 v3, vcc_lo, 0x1000, v3
	v_add_co_ci_u32_e32 v4, vcc_lo, 0, v4, vcc_lo
	v_cmp_eq_u32_e32 vcc_lo, 0x59, v0
	global_store_dword v[20:21], v15, off offset:1192
	s_waitcnt lgkmcnt(2)
	global_store_dword v[20:21], v5, off offset:1552
	global_store_dword v[20:21], v6, off offset:1912
	s_waitcnt lgkmcnt(1)
	global_store_dword v[3:4], v16, off offset:224
	global_store_dword v[3:4], v17, off offset:584
	s_waitcnt lgkmcnt(0)
	global_store_dword v[3:4], v18, off offset:944
	global_store_dword v[3:4], v19, off offset:1304
	s_and_b32 exec_lo, exec_lo, vcc_lo
	s_cbranch_execz .LBB0_30
; %bb.29:
	v_mov_b32_e32 v0, 0
	ds_read_b32 v3, v0 offset:5760
	v_add_co_u32 v0, vcc_lo, 0x1000, v1
	v_add_co_ci_u32_e32 v1, vcc_lo, 0, v2, vcc_lo
	s_waitcnt lgkmcnt(0)
	global_store_dword v[0:1], v3, off offset:1664
.LBB0_30:
	s_endpgm
	.section	.rodata,"a",@progbits
	.p2align	6, 0x0
	.amdhsa_kernel fft_rtc_back_len1440_factors_10_16_3_3_wgs_90_tpt_90_halfLds_half_ip_CI_unitstride_sbrr_R2C_dirReg
		.amdhsa_group_segment_fixed_size 0
		.amdhsa_private_segment_fixed_size 0
		.amdhsa_kernarg_size 88
		.amdhsa_user_sgpr_count 6
		.amdhsa_user_sgpr_private_segment_buffer 1
		.amdhsa_user_sgpr_dispatch_ptr 0
		.amdhsa_user_sgpr_queue_ptr 0
		.amdhsa_user_sgpr_kernarg_segment_ptr 1
		.amdhsa_user_sgpr_dispatch_id 0
		.amdhsa_user_sgpr_flat_scratch_init 0
		.amdhsa_user_sgpr_private_segment_size 0
		.amdhsa_wavefront_size32 1
		.amdhsa_uses_dynamic_stack 0
		.amdhsa_system_sgpr_private_segment_wavefront_offset 0
		.amdhsa_system_sgpr_workgroup_id_x 1
		.amdhsa_system_sgpr_workgroup_id_y 0
		.amdhsa_system_sgpr_workgroup_id_z 0
		.amdhsa_system_sgpr_workgroup_info 0
		.amdhsa_system_vgpr_workitem_id 0
		.amdhsa_next_free_vgpr 77
		.amdhsa_next_free_sgpr 21
		.amdhsa_reserve_vcc 1
		.amdhsa_reserve_flat_scratch 0
		.amdhsa_float_round_mode_32 0
		.amdhsa_float_round_mode_16_64 0
		.amdhsa_float_denorm_mode_32 3
		.amdhsa_float_denorm_mode_16_64 3
		.amdhsa_dx10_clamp 1
		.amdhsa_ieee_mode 1
		.amdhsa_fp16_overflow 0
		.amdhsa_workgroup_processor_mode 1
		.amdhsa_memory_ordered 1
		.amdhsa_forward_progress 0
		.amdhsa_shared_vgpr_count 0
		.amdhsa_exception_fp_ieee_invalid_op 0
		.amdhsa_exception_fp_denorm_src 0
		.amdhsa_exception_fp_ieee_div_zero 0
		.amdhsa_exception_fp_ieee_overflow 0
		.amdhsa_exception_fp_ieee_underflow 0
		.amdhsa_exception_fp_ieee_inexact 0
		.amdhsa_exception_int_div_zero 0
	.end_amdhsa_kernel
	.text
.Lfunc_end0:
	.size	fft_rtc_back_len1440_factors_10_16_3_3_wgs_90_tpt_90_halfLds_half_ip_CI_unitstride_sbrr_R2C_dirReg, .Lfunc_end0-fft_rtc_back_len1440_factors_10_16_3_3_wgs_90_tpt_90_halfLds_half_ip_CI_unitstride_sbrr_R2C_dirReg
                                        ; -- End function
	.section	.AMDGPU.csdata,"",@progbits
; Kernel info:
; codeLenInByte = 11480
; NumSgprs: 23
; NumVgprs: 77
; ScratchSize: 0
; MemoryBound: 0
; FloatMode: 240
; IeeeMode: 1
; LDSByteSize: 0 bytes/workgroup (compile time only)
; SGPRBlocks: 2
; VGPRBlocks: 9
; NumSGPRsForWavesPerEU: 23
; NumVGPRsForWavesPerEU: 77
; Occupancy: 12
; WaveLimiterHint : 1
; COMPUTE_PGM_RSRC2:SCRATCH_EN: 0
; COMPUTE_PGM_RSRC2:USER_SGPR: 6
; COMPUTE_PGM_RSRC2:TRAP_HANDLER: 0
; COMPUTE_PGM_RSRC2:TGID_X_EN: 1
; COMPUTE_PGM_RSRC2:TGID_Y_EN: 0
; COMPUTE_PGM_RSRC2:TGID_Z_EN: 0
; COMPUTE_PGM_RSRC2:TIDIG_COMP_CNT: 0
	.text
	.p2alignl 6, 3214868480
	.fill 48, 4, 3214868480
	.type	__hip_cuid_75aa7bcc75925c5d,@object ; @__hip_cuid_75aa7bcc75925c5d
	.section	.bss,"aw",@nobits
	.globl	__hip_cuid_75aa7bcc75925c5d
__hip_cuid_75aa7bcc75925c5d:
	.byte	0                               ; 0x0
	.size	__hip_cuid_75aa7bcc75925c5d, 1

	.ident	"AMD clang version 19.0.0git (https://github.com/RadeonOpenCompute/llvm-project roc-6.4.0 25133 c7fe45cf4b819c5991fe208aaa96edf142730f1d)"
	.section	".note.GNU-stack","",@progbits
	.addrsig
	.addrsig_sym __hip_cuid_75aa7bcc75925c5d
	.amdgpu_metadata
---
amdhsa.kernels:
  - .args:
      - .actual_access:  read_only
        .address_space:  global
        .offset:         0
        .size:           8
        .value_kind:     global_buffer
      - .offset:         8
        .size:           8
        .value_kind:     by_value
      - .actual_access:  read_only
        .address_space:  global
        .offset:         16
        .size:           8
        .value_kind:     global_buffer
      - .actual_access:  read_only
        .address_space:  global
        .offset:         24
        .size:           8
        .value_kind:     global_buffer
      - .offset:         32
        .size:           8
        .value_kind:     by_value
      - .actual_access:  read_only
        .address_space:  global
        .offset:         40
        .size:           8
        .value_kind:     global_buffer
      - .actual_access:  read_only
        .address_space:  global
        .offset:         48
        .size:           8
        .value_kind:     global_buffer
      - .offset:         56
        .size:           4
        .value_kind:     by_value
      - .actual_access:  read_only
        .address_space:  global
        .offset:         64
        .size:           8
        .value_kind:     global_buffer
      - .actual_access:  read_only
        .address_space:  global
        .offset:         72
        .size:           8
        .value_kind:     global_buffer
      - .address_space:  global
        .offset:         80
        .size:           8
        .value_kind:     global_buffer
    .group_segment_fixed_size: 0
    .kernarg_segment_align: 8
    .kernarg_segment_size: 88
    .language:       OpenCL C
    .language_version:
      - 2
      - 0
    .max_flat_workgroup_size: 90
    .name:           fft_rtc_back_len1440_factors_10_16_3_3_wgs_90_tpt_90_halfLds_half_ip_CI_unitstride_sbrr_R2C_dirReg
    .private_segment_fixed_size: 0
    .sgpr_count:     23
    .sgpr_spill_count: 0
    .symbol:         fft_rtc_back_len1440_factors_10_16_3_3_wgs_90_tpt_90_halfLds_half_ip_CI_unitstride_sbrr_R2C_dirReg.kd
    .uniform_work_group_size: 1
    .uses_dynamic_stack: false
    .vgpr_count:     77
    .vgpr_spill_count: 0
    .wavefront_size: 32
    .workgroup_processor_mode: 1
amdhsa.target:   amdgcn-amd-amdhsa--gfx1030
amdhsa.version:
  - 1
  - 2
...

	.end_amdgpu_metadata
